;; amdgpu-corpus repo=ROCm/rocFFT kind=compiled arch=gfx1201 opt=O3
	.text
	.amdgcn_target "amdgcn-amd-amdhsa--gfx1201"
	.amdhsa_code_object_version 6
	.protected	bluestein_single_back_len1296_dim1_dp_op_CI_CI ; -- Begin function bluestein_single_back_len1296_dim1_dp_op_CI_CI
	.globl	bluestein_single_back_len1296_dim1_dp_op_CI_CI
	.p2align	8
	.type	bluestein_single_back_len1296_dim1_dp_op_CI_CI,@function
bluestein_single_back_len1296_dim1_dp_op_CI_CI: ; @bluestein_single_back_len1296_dim1_dp_op_CI_CI
; %bb.0:
	s_load_b128 s[16:19], s[0:1], 0x28
	v_mul_u32_u24_e32 v1, 0x25f, v0
	s_mov_b32 s2, exec_lo
	v_mov_b32_e32 v3, 0
	s_delay_alu instid0(VALU_DEP_2) | instskip(NEXT) | instid1(VALU_DEP_1)
	v_lshrrev_b32_e32 v1, 16, v1
	v_add_nc_u32_e32 v2, ttmp9, v1
	s_wait_kmcnt 0x0
	s_delay_alu instid0(VALU_DEP_1)
	v_cmpx_gt_u64_e64 s[16:17], v[2:3]
	s_cbranch_execz .LBB0_2
; %bb.1:
	s_clause 0x1
	s_load_b128 s[4:7], s[0:1], 0x18
	s_load_b128 s[8:11], s[0:1], 0x0
	v_mul_lo_u16 v1, 0x6c, v1
	s_load_b64 s[0:1], s[0:1], 0x38
	v_mov_b32_e32 v4, v2
	s_delay_alu instid0(VALU_DEP_2) | instskip(SKIP_2) | instid1(VALU_DEP_1)
	v_sub_nc_u16 v52, v0, v1
	scratch_store_b64 off, v[4:5], off      ; 8-byte Folded Spill
	v_and_b32_e32 v169, 0xffff, v52
	v_lshlrev_b32_e32 v170, 4, v169
	s_wait_kmcnt 0x0
	s_load_b128 s[12:15], s[4:5], 0x0
	s_wait_kmcnt 0x0
	v_mad_co_u64_u32 v[0:1], null, s14, v2, 0
	v_mad_co_u64_u32 v[2:3], null, s12, v169, 0
	s_mul_u64 s[2:3], s[12:13], 0xd80
	s_mul_i32 s4, s13, 0xffffc340
	s_delay_alu instid0(SALU_CYCLE_1) | instskip(NEXT) | instid1(VALU_DEP_1)
	s_sub_co_i32 s4, s4, s12
	v_mad_co_u64_u32 v[4:5], null, s15, v4, v[1:2]
	s_delay_alu instid0(VALU_DEP_1) | instskip(SKIP_2) | instid1(VALU_DEP_1)
	v_mad_co_u64_u32 v[5:6], null, s13, v169, v[3:4]
	v_mov_b32_e32 v1, v4
	s_mov_b32 s13, 0xbfebb67a
	v_lshlrev_b64_e32 v[0:1], 4, v[0:1]
	s_delay_alu instid0(VALU_DEP_3) | instskip(NEXT) | instid1(VALU_DEP_2)
	v_mov_b32_e32 v3, v5
	v_add_co_u32 v0, vcc_lo, s18, v0
	s_delay_alu instid0(VALU_DEP_2) | instskip(NEXT) | instid1(VALU_DEP_4)
	v_lshlrev_b64_e32 v[2:3], 4, v[2:3]
	v_add_co_ci_u32_e32 v1, vcc_lo, s19, v1, vcc_lo
	s_delay_alu instid0(VALU_DEP_2) | instskip(SKIP_1) | instid1(VALU_DEP_2)
	v_add_co_u32 v0, vcc_lo, v0, v2
	s_wait_alu 0xfffd
	v_add_co_ci_u32_e32 v1, vcc_lo, v1, v3, vcc_lo
	global_load_b128 v[8:11], v170, s[8:9]
	global_load_b128 v[16:19], v[0:1], off
	v_add_co_u32 v0, vcc_lo, v0, s2
	s_wait_alu 0xfffd
	v_add_co_ci_u32_e32 v1, vcc_lo, s3, v1, vcc_lo
	global_load_b128 v[28:31], v170, s[8:9] offset:3456
	global_load_b128 v[20:23], v[0:1], off
	global_load_b128 v[12:15], v170, s[8:9] offset:1728
	v_add_co_u32 v0, vcc_lo, v0, s2
	s_wait_alu 0xfffd
	v_add_co_ci_u32_e32 v1, vcc_lo, s3, v1, vcc_lo
	s_wait_loadcnt 0x4
	scratch_store_b128 off, v[8:11], off offset:24 ; 16-byte Folded Spill
	s_wait_loadcnt 0x3
	v_mul_f64_e32 v[2:3], v[18:19], v[10:11]
	v_mul_f64_e32 v[4:5], v[16:17], v[10:11]
	global_load_b128 v[81:84], v170, s[8:9] offset:5184
	global_load_b128 v[24:27], v[0:1], off
	v_add_co_u32 v0, vcc_lo, v0, s2
	s_wait_loadcnt 0x4
	scratch_store_b128 off, v[28:31], off offset:8 ; 16-byte Folded Spill
	s_wait_loadcnt 0x3
	v_mul_f64_e32 v[6:7], v[22:23], v[30:31]
	s_wait_alu 0xfffd
	v_add_co_ci_u32_e32 v1, vcc_lo, s3, v1, vcc_lo
	v_fma_f64 v[48:49], v[16:17], v[8:9], v[2:3]
	v_mul_f64_e32 v[2:3], v[20:21], v[30:31]
	v_fma_f64 v[50:51], v[18:19], v[8:9], -v[4:5]
	v_fma_f64 v[53:54], v[20:21], v[28:29], v[6:7]
	s_delay_alu instid0(VALU_DEP_3)
	v_fma_f64 v[55:56], v[22:23], v[28:29], -v[2:3]
	s_clause 0x1
	global_load_b128 v[28:31], v170, s[8:9] offset:6912
	global_load_b128 v[16:19], v170, s[8:9] offset:8640
	s_wait_loadcnt 0x1
	v_mul_f64_e32 v[2:3], v[26:27], v[30:31]
	v_mul_f64_e32 v[4:5], v[24:25], v[30:31]
	s_delay_alu instid0(VALU_DEP_2) | instskip(SKIP_3) | instid1(VALU_DEP_4)
	v_fma_f64 v[57:58], v[24:25], v[28:29], v[2:3]
	v_add_co_u32 v2, vcc_lo, v0, s2
	s_wait_alu 0xfffd
	v_add_co_ci_u32_e32 v3, vcc_lo, s3, v1, vcc_lo
	v_fma_f64 v[59:60], v[26:27], v[28:29], -v[4:5]
	global_load_b128 v[24:27], v[0:1], off
	s_clause 0x1
	global_load_b128 v[36:39], v170, s[8:9] offset:10368
	global_load_b128 v[20:23], v170, s[8:9] offset:12096
	global_load_b128 v[32:35], v[2:3], off
	s_wait_loadcnt 0x2
	v_mul_f64_e32 v[0:1], v[26:27], v[38:39]
	v_mul_f64_e32 v[4:5], v[24:25], v[38:39]
	s_delay_alu instid0(VALU_DEP_2) | instskip(NEXT) | instid1(VALU_DEP_2)
	v_fma_f64 v[61:62], v[24:25], v[36:37], v[0:1]
	v_fma_f64 v[63:64], v[26:27], v[36:37], -v[4:5]
	s_clause 0x1
	global_load_b128 v[40:43], v170, s[8:9] offset:13824
	global_load_b128 v[24:27], v170, s[8:9] offset:15552
	s_wait_loadcnt 0x1
	v_mul_f64_e32 v[0:1], v[34:35], v[42:43]
	v_mul_f64_e32 v[4:5], v[32:33], v[42:43]
	s_delay_alu instid0(VALU_DEP_2) | instskip(SKIP_3) | instid1(VALU_DEP_4)
	v_fma_f64 v[65:66], v[32:33], v[40:41], v[0:1]
	v_add_co_u32 v0, vcc_lo, v2, s2
	s_wait_alu 0xfffd
	v_add_co_ci_u32_e32 v1, vcc_lo, s3, v3, vcc_lo
	v_fma_f64 v[67:68], v[34:35], v[40:41], -v[4:5]
	global_load_b128 v[69:72], v[0:1], off
	s_clause 0x1
	global_load_b128 v[44:47], v170, s[8:9] offset:17280
	global_load_b128 v[32:35], v170, s[8:9] offset:19008
	v_mad_co_u64_u32 v[0:1], null, 0xffffc340, s12, v[0:1]
	s_clause 0x1
	scratch_store_b128 off, v[12:15], off offset:40
	scratch_store_b128 off, v[81:84], off offset:56
	v_add_nc_u32_e32 v1, s4, v1
	global_load_b128 v[73:76], v[0:1], off
	v_add_co_u32 v0, vcc_lo, v0, s2
	s_wait_alu 0xfffd
	v_add_co_ci_u32_e32 v1, vcc_lo, s3, v1, vcc_lo
	global_load_b128 v[77:80], v[0:1], off
	v_add_co_u32 v0, vcc_lo, v0, s2
	s_wait_alu 0xfffd
	v_add_co_ci_u32_e32 v1, vcc_lo, s3, v1, vcc_lo
	s_wait_loadcnt 0x3
	v_mul_f64_e32 v[2:3], v[71:72], v[46:47]
	v_mul_f64_e32 v[4:5], v[69:70], v[46:47]
	s_delay_alu instid0(VALU_DEP_2) | instskip(NEXT) | instid1(VALU_DEP_2)
	v_fma_f64 v[69:70], v[69:70], v[44:45], v[2:3]
	v_fma_f64 v[71:72], v[71:72], v[44:45], -v[4:5]
	s_wait_loadcnt 0x1
	v_mul_f64_e32 v[2:3], v[75:76], v[14:15]
	v_mul_f64_e32 v[4:5], v[73:74], v[14:15]
	s_delay_alu instid0(VALU_DEP_2) | instskip(NEXT) | instid1(VALU_DEP_2)
	v_fma_f64 v[73:74], v[73:74], v[12:13], v[2:3]
	v_fma_f64 v[75:76], v[75:76], v[12:13], -v[4:5]
	;; [unrolled: 6-line block ×3, first 2 shown]
	global_load_b128 v[81:84], v[0:1], off
	v_add_co_u32 v0, vcc_lo, v0, s2
	s_wait_alu 0xfffd
	v_add_co_ci_u32_e32 v1, vcc_lo, s3, v1, vcc_lo
	global_load_b128 v[85:88], v[0:1], off
	v_add_co_u32 v0, vcc_lo, v0, s2
	s_wait_alu 0xfffd
	v_add_co_ci_u32_e32 v1, vcc_lo, s3, v1, vcc_lo
	;; [unrolled: 4-line block ×3, first 2 shown]
	s_mov_b32 s2, 0xe8584caa
	s_mov_b32 s3, 0x3febb67a
	s_wait_alu 0xfffe
	s_mov_b32 s12, s2
	global_load_b128 v[93:96], v[0:1], off
	s_wait_loadcnt 0x3
	v_mul_f64_e32 v[2:3], v[83:84], v[18:19]
	v_mul_f64_e32 v[4:5], v[81:82], v[18:19]
	s_wait_loadcnt 0x0
	v_mul_f64_e32 v[0:1], v[95:96], v[34:35]
	s_delay_alu instid0(VALU_DEP_3) | instskip(SKIP_1) | instid1(VALU_DEP_4)
	v_fma_f64 v[81:82], v[81:82], v[16:17], v[2:3]
	v_mul_f64_e32 v[2:3], v[87:88], v[22:23]
	v_fma_f64 v[83:84], v[83:84], v[16:17], -v[4:5]
	v_mul_f64_e32 v[4:5], v[85:86], v[22:23]
	s_delay_alu instid0(VALU_DEP_3) | instskip(SKIP_1) | instid1(VALU_DEP_3)
	v_fma_f64 v[85:86], v[85:86], v[20:21], v[2:3]
	v_mul_f64_e32 v[2:3], v[91:92], v[26:27]
	v_fma_f64 v[87:88], v[87:88], v[20:21], -v[4:5]
	v_mul_f64_e32 v[4:5], v[89:90], v[26:27]
	s_delay_alu instid0(VALU_DEP_3) | instskip(SKIP_1) | instid1(VALU_DEP_3)
	v_fma_f64 v[89:90], v[89:90], v[24:25], v[2:3]
	v_mul_f64_e32 v[2:3], v[93:94], v[34:35]
	v_fma_f64 v[91:92], v[91:92], v[24:25], -v[4:5]
	v_fma_f64 v[93:94], v[93:94], v[32:33], v[0:1]
	s_delay_alu instid0(VALU_DEP_3)
	v_fma_f64 v[95:96], v[95:96], v[32:33], -v[2:3]
	ds_store_b128 v170, v[48:51]
	ds_store_b128 v170, v[73:76] offset:1728
	ds_store_b128 v170, v[53:56] offset:3456
	;; [unrolled: 1-line block ×11, first 2 shown]
	s_load_b128 s[4:7], s[6:7], 0x0
	global_wb scope:SCOPE_SE
	s_wait_storecnt_dscnt 0x0
	s_wait_kmcnt 0x0
	s_barrier_signal -1
	s_barrier_wait -1
	global_inv scope:SCOPE_SE
	ds_load_b128 v[48:51], v170
	ds_load_b128 v[53:56], v170 offset:6912
	ds_load_b128 v[57:60], v170 offset:8640
	;; [unrolled: 1-line block ×5, first 2 shown]
	s_wait_dscnt 0x4
	v_add_f64_e32 v[0:1], v[48:49], v[53:54]
	v_add_f64_e32 v[2:3], v[50:51], v[55:56]
	s_wait_dscnt 0x1
	v_add_f64_e32 v[4:5], v[53:54], v[65:66]
	v_add_f64_e32 v[6:7], v[55:56], v[67:68]
	v_add_f64_e64 v[8:9], v[55:56], -v[67:68]
	v_add_f64_e64 v[10:11], v[53:54], -v[65:66]
	s_wait_dscnt 0x0
	v_add_f64_e64 v[99:100], v[57:58], -v[69:70]
	v_add_f64_e64 v[97:98], v[59:60], -v[71:72]
	v_add_f64_e32 v[0:1], v[0:1], v[65:66]
	v_add_f64_e32 v[2:3], v[2:3], v[67:68]
	ds_load_b128 v[53:56], v170 offset:3456
	ds_load_b128 v[65:68], v170 offset:10368
	;; [unrolled: 1-line block ×6, first 2 shown]
	v_fma_f64 v[4:5], v[4:5], -0.5, v[48:49]
	v_fma_f64 v[6:7], v[6:7], -0.5, v[50:51]
	global_wb scope:SCOPE_SE
	s_wait_dscnt 0x0
	s_barrier_signal -1
	s_barrier_wait -1
	global_inv scope:SCOPE_SE
	v_add_f64_e32 v[12:13], v[53:54], v[65:66]
	v_add_f64_e32 v[14:15], v[55:56], v[67:68]
	;; [unrolled: 1-line block ×4, first 2 shown]
	v_add_f64_e64 v[93:94], v[67:68], -v[83:84]
	v_add_f64_e64 v[95:96], v[65:66], -v[81:82]
	v_add_f64_e32 v[65:66], v[61:62], v[57:58]
	v_add_f64_e32 v[67:68], v[63:64], v[59:60]
	v_add_f64_e64 v[103:104], v[73:74], -v[85:86]
	v_add_f64_e64 v[101:102], v[75:76], -v[87:88]
	v_add_f64_e32 v[12:13], v[12:13], v[81:82]
	v_add_f64_e32 v[81:82], v[57:58], v[69:70]
	;; [unrolled: 1-line block ×11, first 2 shown]
	v_fma_f64 v[105:106], v[81:82], -0.5, v[61:62]
	v_add_f64_e32 v[73:74], v[57:58], v[85:86]
	v_fma_f64 v[85:86], v[89:90], -0.5, v[55:56]
	v_add_f64_e32 v[50:51], v[2:3], v[14:15]
	v_add_f64_e32 v[75:76], v[59:60], v[87:88]
	v_fma_f64 v[87:88], v[91:92], -0.5, v[53:54]
	v_add_f64_e64 v[53:54], v[0:1], -v[12:13]
	v_add_f64_e64 v[55:56], v[2:3], -v[14:15]
	v_fma_f64 v[14:15], v[10:11], s[12:13], v[6:7]
	v_fma_f64 v[91:92], v[71:72], -0.5, v[77:78]
	v_fma_f64 v[107:108], v[83:84], -0.5, v[63:64]
	;; [unrolled: 1-line block ×3, first 2 shown]
	v_fma_f64 v[6:7], v[10:11], s[2:3], v[6:7]
	v_add_f64_e32 v[57:58], v[65:66], v[73:74]
	v_fma_f64 v[0:1], v[95:96], s[12:13], v[85:86]
	v_add_f64_e64 v[61:62], v[65:66], -v[73:74]
	v_add_f64_e32 v[59:60], v[67:68], v[75:76]
	v_fma_f64 v[2:3], v[93:94], s[2:3], v[87:88]
	v_add_f64_e64 v[63:64], v[67:68], -v[75:76]
	v_mul_f64_e32 v[12:13], s[2:3], v[0:1]
	s_delay_alu instid0(VALU_DEP_1) | instskip(SKIP_1) | instid1(VALU_DEP_1)
	v_fma_f64 v[12:13], v[2:3], 0.5, v[12:13]
	v_mul_f64_e32 v[2:3], s[12:13], v[2:3]
	v_fma_f64 v[0:1], v[0:1], 0.5, v[2:3]
	v_fma_f64 v[2:3], v[8:9], s[2:3], v[4:5]
	v_fma_f64 v[4:5], v[8:9], s[12:13], v[4:5]
	s_delay_alu instid0(VALU_DEP_3)
	v_add_f64_e32 v[67:68], v[14:15], v[0:1]
	v_add_f64_e64 v[71:72], v[14:15], -v[0:1]
	v_fma_f64 v[0:1], v[93:94], s[12:13], v[87:88]
	v_add_f64_e32 v[65:66], v[2:3], v[12:13]
	v_add_f64_e64 v[69:70], v[2:3], -v[12:13]
	v_fma_f64 v[2:3], v[95:96], s[2:3], v[85:86]
	s_delay_alu instid0(VALU_DEP_4) | instskip(NEXT) | instid1(VALU_DEP_1)
	v_mul_f64_e32 v[8:9], -0.5, v[0:1]
	v_fma_f64 v[8:9], v[2:3], s[2:3], v[8:9]
	v_mul_f64_e32 v[2:3], -0.5, v[2:3]
	s_delay_alu instid0(VALU_DEP_2) | instskip(NEXT) | instid1(VALU_DEP_2)
	v_add_f64_e32 v[73:74], v[4:5], v[8:9]
	v_fma_f64 v[0:1], v[0:1], s[12:13], v[2:3]
	v_add_f64_e64 v[77:78], v[4:5], -v[8:9]
	v_fma_f64 v[2:3], v[101:102], s[2:3], v[91:92]
	s_delay_alu instid0(VALU_DEP_3) | instskip(SKIP_3) | instid1(VALU_DEP_2)
	v_add_f64_e32 v[75:76], v[6:7], v[0:1]
	v_add_f64_e64 v[79:80], v[6:7], -v[0:1]
	v_fma_f64 v[0:1], v[103:104], s[12:13], v[89:90]
	v_fma_f64 v[6:7], v[99:100], s[12:13], v[107:108]
	v_mul_f64_e32 v[4:5], s[2:3], v[0:1]
	s_delay_alu instid0(VALU_DEP_1) | instskip(SKIP_1) | instid1(VALU_DEP_1)
	v_fma_f64 v[4:5], v[2:3], 0.5, v[4:5]
	v_mul_f64_e32 v[2:3], s[12:13], v[2:3]
	v_fma_f64 v[0:1], v[0:1], 0.5, v[2:3]
	v_fma_f64 v[2:3], v[97:98], s[2:3], v[105:106]
	s_delay_alu instid0(VALU_DEP_2) | instskip(SKIP_2) | instid1(VALU_DEP_4)
	v_add_f64_e32 v[83:84], v[6:7], v[0:1]
	v_add_f64_e64 v[87:88], v[6:7], -v[0:1]
	v_fma_f64 v[0:1], v[101:102], s[12:13], v[91:92]
	v_add_f64_e32 v[81:82], v[2:3], v[4:5]
	v_add_f64_e64 v[85:86], v[2:3], -v[4:5]
	v_fma_f64 v[2:3], v[103:104], s[2:3], v[89:90]
	v_fma_f64 v[4:5], v[97:98], s[12:13], v[105:106]
	;; [unrolled: 1-line block ×3, first 2 shown]
	v_mul_f64_e32 v[8:9], -0.5, v[0:1]
	s_delay_alu instid0(VALU_DEP_1) | instskip(SKIP_1) | instid1(VALU_DEP_2)
	v_fma_f64 v[8:9], v[2:3], s[2:3], v[8:9]
	v_mul_f64_e32 v[2:3], -0.5, v[2:3]
	v_add_f64_e32 v[89:90], v[4:5], v[8:9]
	s_delay_alu instid0(VALU_DEP_2) | instskip(SKIP_1) | instid1(VALU_DEP_2)
	v_fma_f64 v[0:1], v[0:1], s[12:13], v[2:3]
	v_add_f64_e64 v[93:94], v[4:5], -v[8:9]
	v_add_f64_e32 v[91:92], v[6:7], v[0:1]
	v_add_f64_e64 v[95:96], v[6:7], -v[0:1]
	v_mul_lo_u16 v0, v52, 6
	s_delay_alu instid0(VALU_DEP_1) | instskip(NEXT) | instid1(VALU_DEP_1)
	v_and_b32_e32 v0, 0xffff, v0
	v_lshlrev_b32_e32 v254, 4, v0
	ds_store_b128 v254, v[48:51]
	ds_store_b128 v254, v[65:68] offset:16
	ds_store_b128 v254, v[53:56] offset:48
	;; [unrolled: 1-line block ×5, first 2 shown]
	v_add_co_u32 v53, null, 0x6c, v169
	v_and_b32_e32 v54, 0xff, v52
	s_delay_alu instid0(VALU_DEP_2) | instskip(NEXT) | instid1(VALU_DEP_1)
	v_mul_u32_u24_e32 v0, 6, v53
	v_lshlrev_b32_e32 v253, 4, v0
	s_delay_alu instid0(VALU_DEP_3)
	v_mul_lo_u16 v0, 0xab, v54
	ds_store_b128 v253, v[57:60]
	ds_store_b128 v253, v[81:84] offset:16
	ds_store_b128 v253, v[89:92] offset:32
	;; [unrolled: 1-line block ×5, first 2 shown]
	v_lshrrev_b16 v81, 10, v0
	global_wb scope:SCOPE_SE
	s_wait_dscnt 0x0
	s_barrier_signal -1
	s_barrier_wait -1
	global_inv scope:SCOPE_SE
	v_mul_lo_u16 v0, v81, 6
	s_delay_alu instid0(VALU_DEP_1) | instskip(NEXT) | instid1(VALU_DEP_1)
	v_sub_nc_u16 v0, v52, v0
	v_and_b32_e32 v80, 0xff, v0
	s_delay_alu instid0(VALU_DEP_1)
	v_mad_co_u64_u32 v[0:1], null, 0x50, v80, s[10:11]
	global_load_b128 v[48:51], v[0:1], off offset:32
	ds_load_b128 v[55:58], v170 offset:10368
	ds_load_b128 v[68:71], v170 offset:12096
	s_clause 0x1
	global_load_b128 v[60:63], v[0:1], off offset:48
	global_load_b128 v[84:87], v[0:1], off offset:64
	ds_load_b128 v[64:67], v170 offset:17280
	ds_load_b128 v[72:75], v170 offset:19008
	s_wait_loadcnt_dscnt 0x203
	v_mul_f64_e32 v[2:3], v[57:58], v[50:51]
	v_mul_f64_e32 v[4:5], v[55:56], v[50:51]
	s_wait_loadcnt_dscnt 0x1
	v_mul_f64_e32 v[8:9], v[64:65], v[86:87]
	v_mul_f64_e32 v[10:11], v[66:67], v[86:87]
	s_delay_alu instid0(VALU_DEP_4) | instskip(SKIP_4) | instid1(VALU_DEP_4)
	v_fma_f64 v[2:3], v[55:56], v[48:49], -v[2:3]
	v_and_b32_e32 v55, 0xff, v53
	v_fma_f64 v[4:5], v[57:58], v[48:49], v[4:5]
	v_fma_f64 v[8:9], v[66:67], v[84:85], v[8:9]
	v_fma_f64 v[10:11], v[64:65], v[84:85], -v[10:11]
	v_mul_lo_u16 v6, 0xab, v55
	s_delay_alu instid0(VALU_DEP_1) | instskip(NEXT) | instid1(VALU_DEP_1)
	v_lshrrev_b16 v82, 10, v6
	v_mul_lo_u16 v6, v82, 6
	s_delay_alu instid0(VALU_DEP_1) | instskip(NEXT) | instid1(VALU_DEP_1)
	v_sub_nc_u16 v6, v53, v6
	v_and_b32_e32 v83, 0xff, v6
	s_delay_alu instid0(VALU_DEP_1)
	v_mad_co_u64_u32 v[6:7], null, 0x50, v83, s[10:11]
	s_clause 0x2
	global_load_b128 v[56:59], v[6:7], off
	global_load_b128 v[88:91], v[6:7], off offset:32
	global_load_b128 v[64:67], v[6:7], off offset:16
	s_wait_loadcnt 0x1
	v_mul_f64_e32 v[12:13], v[70:71], v[90:91]
	v_mul_f64_e32 v[14:15], v[68:69], v[90:91]
	s_delay_alu instid0(VALU_DEP_2) | instskip(NEXT) | instid1(VALU_DEP_2)
	v_fma_f64 v[12:13], v[68:69], v[88:89], -v[12:13]
	v_fma_f64 v[14:15], v[70:71], v[88:89], v[14:15]
	s_clause 0x1
	global_load_b128 v[96:99], v[6:7], off offset:64
	global_load_b128 v[68:71], v[6:7], off offset:48
	s_wait_loadcnt_dscnt 0x100
	v_mul_f64_e32 v[6:7], v[72:73], v[98:99]
	s_delay_alu instid0(VALU_DEP_1) | instskip(SKIP_1) | instid1(VALU_DEP_1)
	v_fma_f64 v[6:7], v[74:75], v[96:97], v[6:7]
	v_mul_f64_e32 v[74:75], v[74:75], v[98:99]
	v_fma_f64 v[128:129], v[72:73], v[96:97], -v[74:75]
	s_clause 0x1
	global_load_b128 v[72:75], v[0:1], off
	global_load_b128 v[76:79], v[0:1], off offset:16
	ds_load_b128 v[92:95], v170 offset:3456
	ds_load_b128 v[100:103], v170 offset:5184
	s_wait_loadcnt_dscnt 0x101
	v_mul_f64_e32 v[0:1], v[94:95], v[74:75]
	s_delay_alu instid0(VALU_DEP_1) | instskip(SKIP_1) | instid1(VALU_DEP_1)
	v_fma_f64 v[0:1], v[92:93], v[72:73], -v[0:1]
	v_mul_f64_e32 v[92:93], v[92:93], v[74:75]
	v_fma_f64 v[112:113], v[94:95], v[72:73], v[92:93]
	s_wait_dscnt 0x0
	v_mul_f64_e32 v[92:93], v[102:103], v[58:59]
	s_delay_alu instid0(VALU_DEP_1) | instskip(SKIP_1) | instid1(VALU_DEP_1)
	v_fma_f64 v[130:131], v[100:101], v[56:57], -v[92:93]
	v_mul_f64_e32 v[92:93], v[100:101], v[58:59]
	v_fma_f64 v[132:133], v[102:103], v[56:57], v[92:93]
	ds_load_b128 v[92:95], v170 offset:6912
	ds_load_b128 v[100:103], v170 offset:8640
	s_wait_loadcnt_dscnt 0x1
	v_mul_f64_e32 v[104:105], v[94:95], v[78:79]
	s_delay_alu instid0(VALU_DEP_1) | instskip(SKIP_1) | instid1(VALU_DEP_1)
	v_fma_f64 v[114:115], v[92:93], v[76:77], -v[104:105]
	v_mul_f64_e32 v[92:93], v[92:93], v[78:79]
	v_fma_f64 v[116:117], v[94:95], v[76:77], v[92:93]
	ds_load_b128 v[92:95], v170 offset:13824
	ds_load_b128 v[104:107], v170 offset:15552
	s_wait_dscnt 0x1
	v_mul_f64_e32 v[108:109], v[94:95], v[62:63]
	s_delay_alu instid0(VALU_DEP_1) | instskip(SKIP_1) | instid1(VALU_DEP_1)
	v_fma_f64 v[118:119], v[92:93], v[60:61], -v[108:109]
	v_mul_f64_e32 v[92:93], v[92:93], v[62:63]
	v_fma_f64 v[120:121], v[94:95], v[60:61], v[92:93]
	v_mul_f64_e32 v[92:93], v[102:103], v[66:67]
	s_delay_alu instid0(VALU_DEP_1) | instskip(SKIP_1) | instid1(VALU_DEP_1)
	v_fma_f64 v[134:135], v[100:101], v[64:65], -v[92:93]
	v_mul_f64_e32 v[92:93], v[100:101], v[66:67]
	v_fma_f64 v[136:137], v[102:103], v[64:65], v[92:93]
	s_wait_dscnt 0x0
	v_mul_f64_e32 v[92:93], v[106:107], v[70:71]
	s_delay_alu instid0(VALU_DEP_1) | instskip(SKIP_2) | instid1(VALU_DEP_2)
	v_fma_f64 v[138:139], v[104:105], v[68:69], -v[92:93]
	v_mul_f64_e32 v[92:93], v[104:105], v[70:71]
	v_add_f64_e32 v[104:105], v[114:115], v[118:119]
	v_fma_f64 v[140:141], v[106:107], v[68:69], v[92:93]
	ds_load_b128 v[92:95], v170
	ds_load_b128 v[100:103], v170 offset:1728
	global_wb scope:SCOPE_SE
	s_wait_dscnt 0x0
	s_barrier_signal -1
	s_barrier_wait -1
	global_inv scope:SCOPE_SE
	v_fma_f64 v[122:123], v[104:105], -0.5, v[92:93]
	v_add_f64_e32 v[104:105], v[116:117], v[120:121]
	v_add_f64_e32 v[92:93], v[92:93], v[114:115]
	s_delay_alu instid0(VALU_DEP_2) | instskip(NEXT) | instid1(VALU_DEP_2)
	v_fma_f64 v[124:125], v[104:105], -0.5, v[94:95]
	v_add_f64_e32 v[104:105], v[92:93], v[118:119]
	v_add_f64_e32 v[92:93], v[0:1], v[2:3]
	;; [unrolled: 1-line block ×3, first 2 shown]
	s_delay_alu instid0(VALU_DEP_2) | instskip(SKIP_1) | instid1(VALU_DEP_3)
	v_add_f64_e32 v[108:109], v[92:93], v[10:11]
	v_add_f64_e32 v[92:93], v[112:113], v[4:5]
	;; [unrolled: 1-line block ×3, first 2 shown]
	s_delay_alu instid0(VALU_DEP_2) | instskip(NEXT) | instid1(VALU_DEP_4)
	v_add_f64_e32 v[110:111], v[92:93], v[8:9]
	v_add_f64_e32 v[92:93], v[104:105], v[108:109]
	v_add_f64_e64 v[104:105], v[104:105], -v[108:109]
	v_add_f64_e32 v[108:109], v[134:135], v[138:139]
	s_delay_alu instid0(VALU_DEP_4) | instskip(SKIP_1) | instid1(VALU_DEP_3)
	v_add_f64_e32 v[94:95], v[106:107], v[110:111]
	v_add_f64_e64 v[106:107], v[106:107], -v[110:111]
	v_fma_f64 v[142:143], v[108:109], -0.5, v[100:101]
	v_add_f64_e32 v[108:109], v[136:137], v[140:141]
	v_add_f64_e32 v[100:101], v[100:101], v[134:135]
	s_delay_alu instid0(VALU_DEP_2) | instskip(NEXT) | instid1(VALU_DEP_2)
	v_fma_f64 v[144:145], v[108:109], -0.5, v[102:103]
	v_add_f64_e32 v[108:109], v[100:101], v[138:139]
	v_add_f64_e32 v[100:101], v[130:131], v[12:13]
	;; [unrolled: 1-line block ×3, first 2 shown]
	s_delay_alu instid0(VALU_DEP_2) | instskip(SKIP_1) | instid1(VALU_DEP_3)
	v_add_f64_e32 v[126:127], v[100:101], v[128:129]
	v_add_f64_e32 v[100:101], v[132:133], v[14:15]
	v_add_f64_e32 v[110:111], v[102:103], v[140:141]
	s_delay_alu instid0(VALU_DEP_2) | instskip(NEXT) | instid1(VALU_DEP_4)
	v_add_f64_e32 v[146:147], v[100:101], v[6:7]
	v_add_f64_e32 v[100:101], v[108:109], v[126:127]
	v_add_f64_e64 v[108:109], v[108:109], -v[126:127]
	v_add_f64_e32 v[126:127], v[2:3], v[10:11]
	v_add_f64_e64 v[2:3], v[2:3], -v[10:11]
	;; [unrolled: 2-line block ×3, first 2 shown]
	v_add_f64_e64 v[8:9], v[116:117], -v[120:121]
	v_add_f64_e64 v[120:121], v[114:115], -v[118:119]
	v_add_f64_e32 v[102:103], v[110:111], v[146:147]
	v_add_f64_e64 v[110:111], v[110:111], -v[146:147]
	v_fma_f64 v[0:1], v[126:127], -0.5, v[0:1]
	v_fma_f64 v[10:11], v[10:11], -0.5, v[112:113]
	v_fma_f64 v[126:127], v[8:9], s[2:3], v[122:123]
	v_fma_f64 v[146:147], v[120:121], s[12:13], v[124:125]
	s_delay_alu instid0(VALU_DEP_4)
	v_fma_f64 v[114:115], v[4:5], s[2:3], v[0:1]
	v_fma_f64 v[0:1], v[4:5], s[12:13], v[0:1]
	;; [unrolled: 1-line block ×6, first 2 shown]
	v_mul_f64_e32 v[10:11], -0.5, v[0:1]
	v_mul_f64_e32 v[116:117], s[2:3], v[112:113]
	s_delay_alu instid0(VALU_DEP_2) | instskip(SKIP_1) | instid1(VALU_DEP_3)
	v_fma_f64 v[10:11], v[2:3], s[2:3], v[10:11]
	v_mul_f64_e32 v[2:3], -0.5, v[2:3]
	v_fma_f64 v[116:117], v[114:115], 0.5, v[116:117]
	v_mul_f64_e32 v[114:115], s[12:13], v[114:115]
	s_delay_alu instid0(VALU_DEP_4) | instskip(NEXT) | instid1(VALU_DEP_4)
	v_add_f64_e32 v[120:121], v[4:5], v[10:11]
	v_fma_f64 v[0:1], v[0:1], s[12:13], v[2:3]
	v_add_f64_e64 v[124:125], v[4:5], -v[10:11]
	v_add_f64_e32 v[4:5], v[14:15], v[6:7]
	v_fma_f64 v[118:119], v[112:113], 0.5, v[114:115]
	v_add_f64_e32 v[112:113], v[126:127], v[116:117]
	v_add_f64_e64 v[116:117], v[126:127], -v[116:117]
	v_add_f64_e64 v[2:3], v[12:13], -v[128:129]
	;; [unrolled: 1-line block ×4, first 2 shown]
	v_add_f64_e32 v[122:123], v[8:9], v[0:1]
	v_add_f64_e64 v[126:127], v[8:9], -v[0:1]
	v_add_f64_e32 v[0:1], v[12:13], v[128:129]
	v_fma_f64 v[4:5], v[4:5], -0.5, v[132:133]
	v_add_f64_e64 v[8:9], v[136:137], -v[140:141]
	v_add_f64_e32 v[114:115], v[146:147], v[118:119]
	v_add_f64_e64 v[118:119], v[146:147], -v[118:119]
	v_fma_f64 v[134:135], v[10:11], s[12:13], v[144:145]
	v_fma_f64 v[0:1], v[0:1], -0.5, v[130:131]
	v_fma_f64 v[12:13], v[2:3], s[12:13], v[4:5]
	v_fma_f64 v[2:3], v[2:3], s[2:3], v[4:5]
	;; [unrolled: 1-line block ×3, first 2 shown]
	s_delay_alu instid0(VALU_DEP_4) | instskip(NEXT) | instid1(VALU_DEP_4)
	v_fma_f64 v[14:15], v[6:7], s[2:3], v[0:1]
	v_mul_f64_e32 v[128:129], s[2:3], v[12:13]
	v_fma_f64 v[0:1], v[6:7], s[12:13], v[0:1]
	v_fma_f64 v[6:7], v[10:11], s[2:3], v[144:145]
	s_delay_alu instid0(VALU_DEP_3) | instskip(SKIP_1) | instid1(VALU_DEP_1)
	v_fma_f64 v[132:133], v[14:15], 0.5, v[128:129]
	v_mul_f64_e32 v[14:15], s[12:13], v[14:15]
	v_fma_f64 v[12:13], v[12:13], 0.5, v[14:15]
	v_fma_f64 v[14:15], v[8:9], s[2:3], v[142:143]
	v_mul_f64_e32 v[8:9], -0.5, v[0:1]
	s_delay_alu instid0(VALU_DEP_3) | instskip(NEXT) | instid1(VALU_DEP_3)
	v_add_f64_e32 v[130:131], v[134:135], v[12:13]
	v_add_f64_e32 v[128:129], v[14:15], v[132:133]
	s_delay_alu instid0(VALU_DEP_3) | instskip(SKIP_3) | instid1(VALU_DEP_4)
	v_fma_f64 v[8:9], v[2:3], s[2:3], v[8:9]
	v_mul_f64_e32 v[2:3], -0.5, v[2:3]
	v_add_f64_e64 v[132:133], v[14:15], -v[132:133]
	v_add_f64_e64 v[134:135], v[134:135], -v[12:13]
	v_add_f64_e32 v[136:137], v[4:5], v[8:9]
	s_delay_alu instid0(VALU_DEP_4) | instskip(SKIP_1) | instid1(VALU_DEP_2)
	v_fma_f64 v[0:1], v[0:1], s[12:13], v[2:3]
	v_add_f64_e64 v[140:141], v[4:5], -v[8:9]
	v_add_f64_e32 v[138:139], v[6:7], v[0:1]
	v_add_f64_e64 v[142:143], v[6:7], -v[0:1]
	v_and_b32_e32 v0, 0xffff, v81
	v_mul_lo_u16 v6, v55, 57
	s_delay_alu instid0(VALU_DEP_2) | instskip(NEXT) | instid1(VALU_DEP_2)
	v_mul_u32_u24_e32 v0, 36, v0
	v_lshrrev_b16 v55, 11, v6
	s_delay_alu instid0(VALU_DEP_2)
	v_add_lshl_u32 v168, v0, v80, 4
	v_and_b32_e32 v0, 0xffff, v82
	ds_store_b128 v168, v[92:95]
	ds_store_b128 v168, v[112:115] offset:96
	ds_store_b128 v168, v[104:107] offset:288
	;; [unrolled: 1-line block ×5, first 2 shown]
	v_mul_u32_u24_e32 v0, 36, v0
	v_mul_lo_u16 v6, v55, 36
	s_delay_alu instid0(VALU_DEP_2)
	v_add_lshl_u32 v255, v0, v83, 4
	v_mul_lo_u16 v0, v54, 57
	ds_store_b128 v255, v[100:103]
	ds_store_b128 v255, v[128:131] offset:96
	ds_store_b128 v255, v[136:139] offset:192
	;; [unrolled: 1-line block ×5, first 2 shown]
	v_lshrrev_b16 v54, 11, v0
	global_wb scope:SCOPE_SE
	s_wait_dscnt 0x0
	s_barrier_signal -1
	s_barrier_wait -1
	global_inv scope:SCOPE_SE
	v_mul_lo_u16 v0, v54, 36
	v_sub_nc_u16 v6, v53, v6
	s_delay_alu instid0(VALU_DEP_2) | instskip(NEXT) | instid1(VALU_DEP_2)
	v_sub_nc_u16 v0, v52, v0
	v_and_b32_e32 v53, 0xff, v6
	s_delay_alu instid0(VALU_DEP_2) | instskip(NEXT) | instid1(VALU_DEP_2)
	v_and_b32_e32 v52, 0xff, v0
	v_mad_co_u64_u32 v[6:7], null, 0x50, v53, s[10:11]
	s_delay_alu instid0(VALU_DEP_2)
	v_mad_co_u64_u32 v[0:1], null, 0x50, v52, s[10:11]
	global_load_b128 v[80:83], v[0:1], off offset:512
	ds_load_b128 v[92:95], v170 offset:10368
	ds_load_b128 v[112:115], v170 offset:12096
	s_clause 0x1
	global_load_b128 v[104:107], v[0:1], off offset:528
	global_load_b128 v[140:143], v[0:1], off offset:544
	s_wait_loadcnt_dscnt 0x201
	v_mul_f64_e32 v[2:3], v[94:95], v[82:83]
	v_mul_f64_e32 v[4:5], v[92:93], v[82:83]
	s_delay_alu instid0(VALU_DEP_2) | instskip(NEXT) | instid1(VALU_DEP_2)
	v_fma_f64 v[2:3], v[92:93], v[80:81], -v[2:3]
	v_fma_f64 v[4:5], v[94:95], v[80:81], v[4:5]
	ds_load_b128 v[92:95], v170 offset:17280
	ds_load_b128 v[116:119], v170 offset:19008
	s_clause 0x2
	global_load_b128 v[100:103], v[6:7], off offset:480
	global_load_b128 v[144:147], v[6:7], off offset:512
	;; [unrolled: 1-line block ×3, first 2 shown]
	s_wait_loadcnt_dscnt 0x301
	v_mul_f64_e32 v[10:11], v[94:95], v[142:143]
	v_mul_f64_e32 v[8:9], v[92:93], v[142:143]
	s_delay_alu instid0(VALU_DEP_2) | instskip(NEXT) | instid1(VALU_DEP_2)
	v_fma_f64 v[10:11], v[92:93], v[140:141], -v[10:11]
	v_fma_f64 v[8:9], v[94:95], v[140:141], v[8:9]
	s_wait_loadcnt 0x1
	v_mul_f64_e32 v[12:13], v[114:115], v[146:147]
	v_mul_f64_e32 v[14:15], v[112:113], v[146:147]
	s_delay_alu instid0(VALU_DEP_2) | instskip(NEXT) | instid1(VALU_DEP_2)
	v_fma_f64 v[12:13], v[112:113], v[144:145], -v[12:13]
	v_fma_f64 v[14:15], v[114:115], v[144:145], v[14:15]
	s_clause 0x3
	global_load_b128 v[148:151], v[6:7], off offset:544
	global_load_b128 v[112:115], v[6:7], off offset:528
	;; [unrolled: 1-line block ×4, first 2 shown]
	s_wait_loadcnt_dscnt 0x300
	v_mul_f64_e32 v[6:7], v[116:117], v[150:151]
	v_mul_f64_e32 v[92:93], v[118:119], v[150:151]
	s_delay_alu instid0(VALU_DEP_2) | instskip(NEXT) | instid1(VALU_DEP_2)
	v_fma_f64 v[6:7], v[118:119], v[148:149], v[6:7]
	v_fma_f64 v[164:165], v[116:117], v[148:149], -v[92:93]
	ds_load_b128 v[92:95], v170 offset:3456
	ds_load_b128 v[116:119], v170 offset:5184
	s_wait_loadcnt_dscnt 0x101
	v_mul_f64_e32 v[0:1], v[94:95], v[122:123]
	s_delay_alu instid0(VALU_DEP_1) | instskip(SKIP_1) | instid1(VALU_DEP_1)
	v_fma_f64 v[0:1], v[92:93], v[120:121], -v[0:1]
	v_mul_f64_e32 v[92:93], v[92:93], v[122:123]
	v_fma_f64 v[136:137], v[94:95], v[120:121], v[92:93]
	s_wait_dscnt 0x0
	v_mul_f64_e32 v[92:93], v[118:119], v[102:103]
	s_delay_alu instid0(VALU_DEP_1) | instskip(SKIP_1) | instid1(VALU_DEP_1)
	v_fma_f64 v[166:167], v[116:117], v[100:101], -v[92:93]
	v_mul_f64_e32 v[92:93], v[116:117], v[102:103]
	v_fma_f64 v[171:172], v[118:119], v[100:101], v[92:93]
	ds_load_b128 v[92:95], v170 offset:6912
	ds_load_b128 v[116:119], v170 offset:8640
	s_wait_loadcnt_dscnt 0x1
	v_mul_f64_e32 v[124:125], v[94:95], v[130:131]
	s_delay_alu instid0(VALU_DEP_1) | instskip(SKIP_1) | instid1(VALU_DEP_1)
	v_fma_f64 v[138:139], v[92:93], v[128:129], -v[124:125]
	v_mul_f64_e32 v[92:93], v[92:93], v[130:131]
	v_fma_f64 v[152:153], v[94:95], v[128:129], v[92:93]
	ds_load_b128 v[92:95], v170 offset:13824
	ds_load_b128 v[124:127], v170 offset:15552
	s_wait_dscnt 0x1
	v_mul_f64_e32 v[132:133], v[94:95], v[106:107]
	s_delay_alu instid0(VALU_DEP_1) | instskip(SKIP_1) | instid1(VALU_DEP_1)
	v_fma_f64 v[154:155], v[92:93], v[104:105], -v[132:133]
	v_mul_f64_e32 v[92:93], v[92:93], v[106:107]
	v_fma_f64 v[156:157], v[94:95], v[104:105], v[92:93]
	v_mul_f64_e32 v[92:93], v[118:119], v[110:111]
	s_delay_alu instid0(VALU_DEP_1) | instskip(SKIP_1) | instid1(VALU_DEP_1)
	v_fma_f64 v[173:174], v[116:117], v[108:109], -v[92:93]
	v_mul_f64_e32 v[92:93], v[116:117], v[110:111]
	v_fma_f64 v[175:176], v[118:119], v[108:109], v[92:93]
	s_wait_dscnt 0x0
	v_mul_f64_e32 v[92:93], v[126:127], v[114:115]
	s_delay_alu instid0(VALU_DEP_1) | instskip(SKIP_2) | instid1(VALU_DEP_2)
	v_fma_f64 v[177:178], v[124:125], v[112:113], -v[92:93]
	v_mul_f64_e32 v[92:93], v[124:125], v[114:115]
	v_add_f64_e32 v[124:125], v[138:139], v[154:155]
	v_fma_f64 v[179:180], v[126:127], v[112:113], v[92:93]
	ds_load_b128 v[92:95], v170
	ds_load_b128 v[116:119], v170 offset:1728
	global_wb scope:SCOPE_SE
	s_wait_dscnt 0x0
	s_barrier_signal -1
	s_barrier_wait -1
	global_inv scope:SCOPE_SE
	v_fma_f64 v[158:159], v[124:125], -0.5, v[92:93]
	v_add_f64_e32 v[124:125], v[152:153], v[156:157]
	v_add_f64_e32 v[92:93], v[92:93], v[138:139]
	s_delay_alu instid0(VALU_DEP_2) | instskip(NEXT) | instid1(VALU_DEP_2)
	v_fma_f64 v[160:161], v[124:125], -0.5, v[94:95]
	v_add_f64_e32 v[124:125], v[92:93], v[154:155]
	v_add_f64_e32 v[92:93], v[0:1], v[2:3]
	;; [unrolled: 1-line block ×3, first 2 shown]
	s_delay_alu instid0(VALU_DEP_2) | instskip(SKIP_1) | instid1(VALU_DEP_3)
	v_add_f64_e32 v[132:133], v[92:93], v[10:11]
	v_add_f64_e32 v[92:93], v[136:137], v[4:5]
	;; [unrolled: 1-line block ×3, first 2 shown]
	s_delay_alu instid0(VALU_DEP_2) | instskip(NEXT) | instid1(VALU_DEP_4)
	v_add_f64_e32 v[134:135], v[92:93], v[8:9]
	v_add_f64_e32 v[92:93], v[124:125], v[132:133]
	v_add_f64_e64 v[124:125], v[124:125], -v[132:133]
	v_add_f64_e32 v[132:133], v[173:174], v[177:178]
	s_delay_alu instid0(VALU_DEP_4) | instskip(SKIP_1) | instid1(VALU_DEP_3)
	v_add_f64_e32 v[94:95], v[126:127], v[134:135]
	v_add_f64_e64 v[126:127], v[126:127], -v[134:135]
	v_fma_f64 v[181:182], v[132:133], -0.5, v[116:117]
	v_add_f64_e32 v[132:133], v[175:176], v[179:180]
	v_add_f64_e32 v[116:117], v[116:117], v[173:174]
	s_delay_alu instid0(VALU_DEP_2) | instskip(NEXT) | instid1(VALU_DEP_2)
	v_fma_f64 v[183:184], v[132:133], -0.5, v[118:119]
	v_add_f64_e32 v[132:133], v[116:117], v[177:178]
	v_add_f64_e32 v[116:117], v[166:167], v[12:13]
	;; [unrolled: 1-line block ×3, first 2 shown]
	s_delay_alu instid0(VALU_DEP_2) | instskip(SKIP_1) | instid1(VALU_DEP_3)
	v_add_f64_e32 v[162:163], v[116:117], v[164:165]
	v_add_f64_e32 v[116:117], v[171:172], v[14:15]
	;; [unrolled: 1-line block ×3, first 2 shown]
	s_delay_alu instid0(VALU_DEP_2) | instskip(NEXT) | instid1(VALU_DEP_4)
	v_add_f64_e32 v[185:186], v[116:117], v[6:7]
	v_add_f64_e32 v[116:117], v[132:133], v[162:163]
	v_add_f64_e64 v[132:133], v[132:133], -v[162:163]
	v_add_f64_e32 v[162:163], v[2:3], v[10:11]
	v_add_f64_e64 v[2:3], v[2:3], -v[10:11]
	;; [unrolled: 2-line block ×3, first 2 shown]
	v_add_f64_e64 v[8:9], v[152:153], -v[156:157]
	v_add_f64_e64 v[156:157], v[138:139], -v[154:155]
	v_add_f64_e32 v[118:119], v[134:135], v[185:186]
	v_add_f64_e64 v[134:135], v[134:135], -v[185:186]
	v_fma_f64 v[0:1], v[162:163], -0.5, v[0:1]
	v_fma_f64 v[10:11], v[10:11], -0.5, v[136:137]
	v_fma_f64 v[162:163], v[8:9], s[2:3], v[158:159]
	v_fma_f64 v[185:186], v[156:157], s[12:13], v[160:161]
	s_delay_alu instid0(VALU_DEP_4)
	v_fma_f64 v[138:139], v[4:5], s[2:3], v[0:1]
	v_fma_f64 v[0:1], v[4:5], s[12:13], v[0:1]
	;; [unrolled: 1-line block ×6, first 2 shown]
	v_mul_f64_e32 v[10:11], -0.5, v[0:1]
	v_mul_f64_e32 v[152:153], s[2:3], v[136:137]
	s_delay_alu instid0(VALU_DEP_2) | instskip(SKIP_1) | instid1(VALU_DEP_3)
	v_fma_f64 v[10:11], v[2:3], s[2:3], v[10:11]
	v_mul_f64_e32 v[2:3], -0.5, v[2:3]
	v_fma_f64 v[152:153], v[138:139], 0.5, v[152:153]
	v_mul_f64_e32 v[138:139], s[12:13], v[138:139]
	s_delay_alu instid0(VALU_DEP_4) | instskip(NEXT) | instid1(VALU_DEP_4)
	v_add_f64_e32 v[156:157], v[4:5], v[10:11]
	v_fma_f64 v[0:1], v[0:1], s[12:13], v[2:3]
	v_add_f64_e64 v[160:161], v[4:5], -v[10:11]
	v_add_f64_e32 v[4:5], v[14:15], v[6:7]
	v_fma_f64 v[154:155], v[136:137], 0.5, v[138:139]
	v_add_f64_e32 v[136:137], v[162:163], v[152:153]
	v_add_f64_e64 v[152:153], v[162:163], -v[152:153]
	v_add_f64_e64 v[2:3], v[12:13], -v[164:165]
	;; [unrolled: 1-line block ×4, first 2 shown]
	v_add_f64_e32 v[158:159], v[8:9], v[0:1]
	v_add_f64_e64 v[162:163], v[8:9], -v[0:1]
	v_add_f64_e32 v[0:1], v[12:13], v[164:165]
	v_fma_f64 v[4:5], v[4:5], -0.5, v[171:172]
	v_add_f64_e64 v[8:9], v[175:176], -v[179:180]
	v_add_f64_e32 v[138:139], v[185:186], v[154:155]
	v_add_f64_e64 v[154:155], v[185:186], -v[154:155]
	v_fma_f64 v[173:174], v[10:11], s[12:13], v[183:184]
	v_fma_f64 v[0:1], v[0:1], -0.5, v[166:167]
	v_fma_f64 v[12:13], v[2:3], s[12:13], v[4:5]
	v_fma_f64 v[2:3], v[2:3], s[2:3], v[4:5]
	v_fma_f64 v[4:5], v[8:9], s[12:13], v[181:182]
	s_delay_alu instid0(VALU_DEP_4) | instskip(NEXT) | instid1(VALU_DEP_4)
	v_fma_f64 v[14:15], v[6:7], s[2:3], v[0:1]
	v_mul_f64_e32 v[164:165], s[2:3], v[12:13]
	v_fma_f64 v[0:1], v[6:7], s[12:13], v[0:1]
	v_fma_f64 v[6:7], v[10:11], s[2:3], v[183:184]
	s_delay_alu instid0(VALU_DEP_3) | instskip(SKIP_1) | instid1(VALU_DEP_1)
	v_fma_f64 v[171:172], v[14:15], 0.5, v[164:165]
	v_mul_f64_e32 v[14:15], s[12:13], v[14:15]
	v_fma_f64 v[12:13], v[12:13], 0.5, v[14:15]
	v_fma_f64 v[14:15], v[8:9], s[2:3], v[181:182]
	v_mul_f64_e32 v[8:9], -0.5, v[0:1]
	s_delay_alu instid0(VALU_DEP_3) | instskip(NEXT) | instid1(VALU_DEP_3)
	v_add_f64_e32 v[166:167], v[173:174], v[12:13]
	v_add_f64_e32 v[164:165], v[14:15], v[171:172]
	s_delay_alu instid0(VALU_DEP_3) | instskip(SKIP_3) | instid1(VALU_DEP_4)
	v_fma_f64 v[8:9], v[2:3], s[2:3], v[8:9]
	v_mul_f64_e32 v[2:3], -0.5, v[2:3]
	v_add_f64_e64 v[177:178], v[14:15], -v[171:172]
	v_add_f64_e64 v[179:180], v[173:174], -v[12:13]
	v_add_f64_e32 v[181:182], v[4:5], v[8:9]
	s_delay_alu instid0(VALU_DEP_4) | instskip(SKIP_1) | instid1(VALU_DEP_2)
	v_fma_f64 v[0:1], v[0:1], s[12:13], v[2:3]
	v_add_f64_e64 v[185:186], v[4:5], -v[8:9]
	v_add_f64_e32 v[183:184], v[6:7], v[0:1]
	v_add_f64_e64 v[187:188], v[6:7], -v[0:1]
	v_and_b32_e32 v0, 0xffff, v54
	s_delay_alu instid0(VALU_DEP_1) | instskip(NEXT) | instid1(VALU_DEP_1)
	v_mul_u32_u24_e32 v0, 0xd8, v0
	v_add_lshl_u32 v176, v0, v52, 4
	v_and_b32_e32 v0, 0xffff, v55
	ds_store_b128 v176, v[92:95]
	ds_store_b128 v176, v[136:139] offset:576
	ds_store_b128 v176, v[124:127] offset:1728
	;; [unrolled: 1-line block ×5, first 2 shown]
	v_mul_u32_u24_e32 v0, 0xd8, v0
	s_delay_alu instid0(VALU_DEP_1)
	v_add_lshl_u32 v175, v0, v53, 4
	v_mad_co_u64_u32 v[0:1], null, 0x50, v169, s[10:11]
	ds_store_b128 v175, v[116:119]
	ds_store_b128 v175, v[164:167] offset:576
	ds_store_b128 v175, v[181:184] offset:1152
	;; [unrolled: 1-line block ×5, first 2 shown]
	global_wb scope:SCOPE_SE
	s_wait_dscnt 0x0
	s_barrier_signal -1
	s_barrier_wait -1
	global_inv scope:SCOPE_SE
	s_clause 0x1
	global_load_b128 v[52:55], v[0:1], off offset:3360
	global_load_b128 v[92:95], v[0:1], off offset:3376
	ds_load_b128 v[116:119], v170 offset:3456
	ds_load_b128 v[132:135], v170 offset:5184
	s_add_nc_u64 s[10:11], s[8:9], 0x5100
	s_wait_loadcnt_dscnt 0x101
	v_mul_f64_e32 v[2:3], v[118:119], v[54:55]
	v_mul_f64_e32 v[4:5], v[116:117], v[54:55]
	s_delay_alu instid0(VALU_DEP_2) | instskip(NEXT) | instid1(VALU_DEP_2)
	v_fma_f64 v[2:3], v[116:117], v[52:53], -v[2:3]
	v_fma_f64 v[4:5], v[118:119], v[52:53], v[4:5]
	ds_load_b128 v[116:119], v170 offset:6912
	ds_load_b128 v[136:139], v170 offset:8640
	s_wait_loadcnt_dscnt 0x1
	v_mul_f64_e32 v[6:7], v[118:119], v[94:95]
	v_mul_f64_e32 v[8:9], v[116:117], v[94:95]
	s_delay_alu instid0(VALU_DEP_2) | instskip(NEXT) | instid1(VALU_DEP_2)
	v_fma_f64 v[6:7], v[116:117], v[92:93], -v[6:7]
	v_fma_f64 v[8:9], v[118:119], v[92:93], v[8:9]
	s_clause 0x1
	global_load_b128 v[116:119], v[0:1], off offset:3408
	global_load_b128 v[156:159], v[0:1], off offset:3392
	ds_load_b128 v[124:127], v170 offset:13824
	ds_load_b128 v[177:180], v170 offset:15552
	s_wait_loadcnt_dscnt 0x101
	v_mul_f64_e32 v[10:11], v[126:127], v[118:119]
	v_mul_f64_e32 v[12:13], v[124:125], v[118:119]
	s_delay_alu instid0(VALU_DEP_2) | instskip(NEXT) | instid1(VALU_DEP_2)
	v_fma_f64 v[10:11], v[124:125], v[116:117], -v[10:11]
	v_fma_f64 v[12:13], v[126:127], v[116:117], v[12:13]
	ds_load_b128 v[124:127], v170 offset:10368
	ds_load_b128 v[164:167], v170 offset:12096
	s_wait_loadcnt_dscnt 0x1
	v_mul_f64_e32 v[14:15], v[126:127], v[158:159]
	s_delay_alu instid0(VALU_DEP_1) | instskip(SKIP_1) | instid1(VALU_DEP_1)
	v_fma_f64 v[14:15], v[124:125], v[156:157], -v[14:15]
	v_mul_f64_e32 v[124:125], v[124:125], v[158:159]
	v_fma_f64 v[171:172], v[126:127], v[156:157], v[124:125]
	s_clause 0x1
	global_load_b128 v[152:155], v[0:1], off offset:3424
	global_load_b128 v[124:127], v[0:1], off offset:12000
	ds_load_b128 v[160:163], v170 offset:17280
	ds_load_b128 v[181:184], v170 offset:19008
	s_wait_loadcnt_dscnt 0x101
	v_mul_f64_e32 v[173:174], v[162:163], v[154:155]
	s_delay_alu instid0(VALU_DEP_1) | instskip(SKIP_1) | instid1(VALU_DEP_1)
	v_fma_f64 v[173:174], v[160:161], v[152:153], -v[173:174]
	v_mul_f64_e32 v[160:161], v[160:161], v[154:155]
	v_fma_f64 v[193:194], v[162:163], v[152:153], v[160:161]
	s_wait_loadcnt 0x0
	v_mul_f64_e32 v[160:161], v[134:135], v[126:127]
	s_delay_alu instid0(VALU_DEP_1) | instskip(SKIP_1) | instid1(VALU_DEP_1)
	v_fma_f64 v[209:210], v[132:133], v[124:125], -v[160:161]
	v_mul_f64_e32 v[132:133], v[132:133], v[126:127]
	v_fma_f64 v[211:212], v[134:135], v[124:125], v[132:133]
	s_clause 0x1
	global_load_b128 v[132:135], v[0:1], off offset:12016
	global_load_b128 v[160:163], v[0:1], off offset:12032
	s_wait_loadcnt 0x1
	v_mul_f64_e32 v[185:186], v[138:139], v[134:135]
	s_delay_alu instid0(VALU_DEP_1) | instskip(SKIP_2) | instid1(VALU_DEP_2)
	v_fma_f64 v[213:214], v[136:137], v[132:133], -v[185:186]
	v_mul_f64_e32 v[136:137], v[136:137], v[134:135]
	v_add_f64_e32 v[185:186], v[6:7], v[10:11]
	v_fma_f64 v[215:216], v[138:139], v[132:133], v[136:137]
	s_wait_loadcnt 0x0
	v_mul_f64_e32 v[136:137], v[166:167], v[162:163]
	s_delay_alu instid0(VALU_DEP_1) | instskip(SKIP_1) | instid1(VALU_DEP_1)
	v_fma_f64 v[217:218], v[164:165], v[160:161], -v[136:137]
	v_mul_f64_e32 v[136:137], v[164:165], v[162:163]
	v_fma_f64 v[219:220], v[166:167], v[160:161], v[136:137]
	s_clause 0x1
	global_load_b128 v[136:139], v[0:1], off offset:12048
	global_load_b128 v[164:167], v[0:1], off offset:12064
	s_wait_loadcnt 0x1
	v_mul_f64_e32 v[0:1], v[179:180], v[138:139]
	s_delay_alu instid0(VALU_DEP_1) | instskip(SKIP_1) | instid1(VALU_DEP_1)
	v_fma_f64 v[0:1], v[177:178], v[136:137], -v[0:1]
	v_mul_f64_e32 v[177:178], v[177:178], v[138:139]
	v_fma_f64 v[221:222], v[179:180], v[136:137], v[177:178]
	s_wait_loadcnt_dscnt 0x0
	v_mul_f64_e32 v[177:178], v[183:184], v[166:167]
	s_delay_alu instid0(VALU_DEP_1) | instskip(SKIP_1) | instid1(VALU_DEP_1)
	v_fma_f64 v[223:224], v[181:182], v[164:165], -v[177:178]
	v_mul_f64_e32 v[177:178], v[181:182], v[166:167]
	v_fma_f64 v[225:226], v[183:184], v[164:165], v[177:178]
	ds_load_b128 v[177:180], v170
	ds_load_b128 v[181:184], v170 offset:1728
	s_wait_dscnt 0x1
	v_fma_f64 v[201:202], v[185:186], -0.5, v[177:178]
	v_add_f64_e32 v[185:186], v[8:9], v[12:13]
	v_add_f64_e32 v[177:178], v[177:178], v[6:7]
	v_add_f64_e64 v[6:7], v[6:7], -v[10:11]
	s_delay_alu instid0(VALU_DEP_3) | instskip(NEXT) | instid1(VALU_DEP_3)
	v_fma_f64 v[203:204], v[185:186], -0.5, v[179:180]
	v_add_f64_e32 v[185:186], v[177:178], v[10:11]
	v_add_f64_e32 v[177:178], v[2:3], v[14:15]
	v_add_f64_e64 v[10:11], v[171:172], -v[193:194]
	v_add_f64_e32 v[179:180], v[179:180], v[8:9]
	v_add_f64_e64 v[8:9], v[8:9], -v[12:13]
	v_fma_f64 v[199:200], v[6:7], s[12:13], v[203:204]
	v_fma_f64 v[6:7], v[6:7], s[2:3], v[203:204]
	v_add_f64_e32 v[189:190], v[177:178], v[173:174]
	v_add_f64_e32 v[177:178], v[4:5], v[171:172]
	;; [unrolled: 1-line block ×3, first 2 shown]
	s_delay_alu instid0(VALU_DEP_2) | instskip(NEXT) | instid1(VALU_DEP_4)
	v_add_f64_e32 v[191:192], v[177:178], v[193:194]
	v_add_f64_e32 v[177:178], v[185:186], v[189:190]
	v_add_f64_e64 v[185:186], v[185:186], -v[189:190]
	v_add_f64_e32 v[189:190], v[213:214], v[0:1]
	s_delay_alu instid0(VALU_DEP_4) | instskip(SKIP_2) | instid1(VALU_DEP_3)
	v_add_f64_e32 v[179:180], v[187:188], v[191:192]
	v_add_f64_e64 v[187:188], v[187:188], -v[191:192]
	s_wait_dscnt 0x0
	v_fma_f64 v[227:228], v[189:190], -0.5, v[181:182]
	v_add_f64_e32 v[189:190], v[215:216], v[221:222]
	v_add_f64_e32 v[181:182], v[181:182], v[213:214]
	s_delay_alu instid0(VALU_DEP_2) | instskip(NEXT) | instid1(VALU_DEP_2)
	v_fma_f64 v[229:230], v[189:190], -0.5, v[183:184]
	v_add_f64_e32 v[189:190], v[181:182], v[0:1]
	v_add_f64_e32 v[181:182], v[209:210], v[217:218]
	;; [unrolled: 1-line block ×3, first 2 shown]
	v_add_f64_e64 v[0:1], v[213:214], -v[0:1]
	s_delay_alu instid0(VALU_DEP_3) | instskip(SKIP_1) | instid1(VALU_DEP_4)
	v_add_f64_e32 v[195:196], v[181:182], v[223:224]
	v_add_f64_e32 v[181:182], v[211:212], v[219:220]
	;; [unrolled: 1-line block ×3, first 2 shown]
	s_delay_alu instid0(VALU_DEP_2) | instskip(NEXT) | instid1(VALU_DEP_4)
	v_add_f64_e32 v[197:198], v[181:182], v[225:226]
	v_add_f64_e32 v[181:182], v[189:190], v[195:196]
	v_add_f64_e64 v[189:190], v[189:190], -v[195:196]
	v_add_f64_e32 v[195:196], v[14:15], v[173:174]
	v_add_f64_e64 v[14:15], v[14:15], -v[173:174]
	v_add_f64_e32 v[173:174], v[171:172], v[193:194]
	v_add_f64_e32 v[183:184], v[191:192], v[197:198]
	v_add_f64_e64 v[191:192], v[191:192], -v[197:198]
	v_fma_f64 v[2:3], v[195:196], -0.5, v[2:3]
	s_delay_alu instid0(VALU_DEP_4) | instskip(NEXT) | instid1(VALU_DEP_2)
	v_fma_f64 v[4:5], v[173:174], -0.5, v[4:5]
	v_fma_f64 v[171:172], v[10:11], s[2:3], v[2:3]
	v_fma_f64 v[2:3], v[10:11], s[12:13], v[2:3]
	s_delay_alu instid0(VALU_DEP_3) | instskip(SKIP_1) | instid1(VALU_DEP_3)
	v_fma_f64 v[12:13], v[14:15], s[12:13], v[4:5]
	v_fma_f64 v[4:5], v[14:15], s[2:3], v[4:5]
	v_mul_f64_e32 v[10:11], -0.5, v[2:3]
	s_delay_alu instid0(VALU_DEP_3) | instskip(NEXT) | instid1(VALU_DEP_2)
	v_mul_f64_e32 v[173:174], s[2:3], v[12:13]
	v_fma_f64 v[10:11], v[4:5], s[2:3], v[10:11]
	v_mul_f64_e32 v[4:5], -0.5, v[4:5]
	s_delay_alu instid0(VALU_DEP_3) | instskip(SKIP_1) | instid1(VALU_DEP_3)
	v_fma_f64 v[173:174], v[171:172], 0.5, v[173:174]
	v_mul_f64_e32 v[171:172], s[12:13], v[171:172]
	v_fma_f64 v[2:3], v[2:3], s[12:13], v[4:5]
	v_add_f64_e64 v[4:5], v[217:218], -v[223:224]
	s_delay_alu instid0(VALU_DEP_3)
	v_fma_f64 v[12:13], v[12:13], 0.5, v[171:172]
	v_fma_f64 v[171:172], v[8:9], s[2:3], v[201:202]
	v_fma_f64 v[8:9], v[8:9], s[12:13], v[201:202]
	v_add_f64_e32 v[203:204], v[6:7], v[2:3]
	v_add_f64_e64 v[207:208], v[6:7], -v[2:3]
	v_add_f64_e32 v[6:7], v[219:220], v[225:226]
	v_add_f64_e32 v[2:3], v[217:218], v[223:224]
	;; [unrolled: 1-line block ×3, first 2 shown]
	v_add_f64_e64 v[199:200], v[199:200], -v[12:13]
	v_add_f64_e32 v[201:202], v[8:9], v[10:11]
	v_add_f64_e64 v[205:206], v[8:9], -v[10:11]
	v_add_f64_e64 v[10:11], v[219:220], -v[225:226]
	v_add_f64_e32 v[193:194], v[171:172], v[173:174]
	v_add_f64_e64 v[197:198], v[171:172], -v[173:174]
	v_add_f64_e64 v[8:9], v[215:216], -v[221:222]
	v_fma_f64 v[173:174], v[0:1], s[12:13], v[229:230]
	v_fma_f64 v[0:1], v[0:1], s[2:3], v[229:230]
	v_fma_f64 v[6:7], v[6:7], -0.5, v[211:212]
	v_fma_f64 v[2:3], v[2:3], -0.5, v[209:210]
	s_delay_alu instid0(VALU_DEP_2) | instskip(NEXT) | instid1(VALU_DEP_2)
	v_fma_f64 v[12:13], v[4:5], s[12:13], v[6:7]
	v_fma_f64 v[14:15], v[10:11], s[2:3], v[2:3]
	;; [unrolled: 1-line block ×5, first 2 shown]
	v_mul_f64_e32 v[171:172], s[2:3], v[12:13]
	s_delay_alu instid0(VALU_DEP_1) | instskip(SKIP_1) | instid1(VALU_DEP_1)
	v_fma_f64 v[171:172], v[14:15], 0.5, v[171:172]
	v_mul_f64_e32 v[14:15], s[12:13], v[14:15]
	v_fma_f64 v[12:13], v[12:13], 0.5, v[14:15]
	v_fma_f64 v[14:15], v[8:9], s[2:3], v[227:228]
	v_mul_f64_e32 v[8:9], -0.5, v[2:3]
	s_delay_alu instid0(VALU_DEP_3) | instskip(NEXT) | instid1(VALU_DEP_3)
	v_add_f64_e32 v[211:212], v[173:174], v[12:13]
	v_add_f64_e32 v[209:210], v[14:15], v[171:172]
	s_delay_alu instid0(VALU_DEP_3) | instskip(SKIP_3) | instid1(VALU_DEP_4)
	v_fma_f64 v[8:9], v[4:5], s[2:3], v[8:9]
	v_mul_f64_e32 v[4:5], -0.5, v[4:5]
	v_add_f64_e64 v[213:214], v[14:15], -v[171:172]
	v_add_f64_e64 v[215:216], v[173:174], -v[12:13]
	v_add_f64_e32 v[217:218], v[6:7], v[8:9]
	s_delay_alu instid0(VALU_DEP_4) | instskip(SKIP_1) | instid1(VALU_DEP_2)
	v_fma_f64 v[2:3], v[2:3], s[12:13], v[4:5]
	v_add_f64_e64 v[221:222], v[6:7], -v[8:9]
	v_add_f64_e32 v[219:220], v[0:1], v[2:3]
	v_add_f64_e64 v[223:224], v[0:1], -v[2:3]
	ds_store_b128 v170, v[177:180]
	ds_store_b128 v170, v[181:184] offset:1728
	ds_store_b128 v170, v[185:188] offset:10368
	;; [unrolled: 1-line block ×11, first 2 shown]
	global_wb scope:SCOPE_SE
	s_wait_dscnt 0x0
	s_barrier_signal -1
	s_barrier_wait -1
	global_inv scope:SCOPE_SE
	global_load_b128 v[177:180], v170, s[8:9] offset:20736
	ds_load_b128 v[181:184], v170
	ds_load_b128 v[185:188], v170 offset:1728
	s_clause 0x8
	global_load_b128 v[193:196], v170, s[10:11] offset:3456
	global_load_b128 v[201:204], v170, s[10:11] offset:1728
	global_load_b128 v[209:212], v170, s[10:11] offset:6912
	global_load_b128 v[217:220], v170, s[10:11] offset:5184
	global_load_b128 v[225:228], v170, s[10:11] offset:10368
	global_load_b128 v[233:236], v170, s[10:11] offset:8640
	global_load_b128 v[241:244], v170, s[10:11] offset:13824
	global_load_b128 v[249:252], v170, s[10:11] offset:12096
	global_load_b128 v[189:192], v170, s[10:11] offset:19008
	ds_load_b128 v[197:200], v170 offset:3456
	ds_load_b128 v[205:208], v170 offset:5184
	;; [unrolled: 1-line block ×8, first 2 shown]
	s_clause 0x1
	global_load_b128 v[171:174], v170, s[10:11] offset:17280
	global_load_b128 v[4:7], v170, s[10:11] offset:15552
	s_wait_loadcnt_dscnt 0xb09
	v_mul_f64_e32 v[0:1], v[183:184], v[179:180]
	v_mul_f64_e32 v[2:3], v[181:182], v[179:180]
	s_delay_alu instid0(VALU_DEP_2) | instskip(NEXT) | instid1(VALU_DEP_2)
	v_fma_f64 v[179:180], v[181:182], v[177:178], -v[0:1]
	v_fma_f64 v[181:182], v[183:184], v[177:178], v[2:3]
	s_wait_loadcnt_dscnt 0xa07
	v_mul_f64_e32 v[0:1], v[199:200], v[195:196]
	v_mul_f64_e32 v[2:3], v[197:198], v[195:196]
	s_delay_alu instid0(VALU_DEP_2) | instskip(NEXT) | instid1(VALU_DEP_2)
	v_fma_f64 v[195:196], v[197:198], v[193:194], -v[0:1]
	v_fma_f64 v[197:198], v[199:200], v[193:194], v[2:3]
	s_wait_loadcnt_dscnt 0x805
	v_mul_f64_e32 v[0:1], v[215:216], v[211:212]
	v_mul_f64_e32 v[2:3], v[213:214], v[211:212]
	s_delay_alu instid0(VALU_DEP_2) | instskip(NEXT) | instid1(VALU_DEP_2)
	v_fma_f64 v[211:212], v[213:214], v[209:210], -v[0:1]
	v_fma_f64 v[213:214], v[215:216], v[209:210], v[2:3]
	s_wait_loadcnt_dscnt 0x603
	v_mul_f64_e32 v[0:1], v[231:232], v[227:228]
	v_mul_f64_e32 v[2:3], v[229:230], v[227:228]
	s_delay_alu instid0(VALU_DEP_2) | instskip(NEXT) | instid1(VALU_DEP_2)
	v_fma_f64 v[227:228], v[229:230], v[225:226], -v[0:1]
	v_fma_f64 v[229:230], v[231:232], v[225:226], v[2:3]
	s_wait_loadcnt_dscnt 0x401
	v_mul_f64_e32 v[0:1], v[247:248], v[243:244]
	v_mul_f64_e32 v[2:3], v[245:246], v[243:244]
	s_delay_alu instid0(VALU_DEP_2) | instskip(NEXT) | instid1(VALU_DEP_2)
	v_fma_f64 v[243:244], v[245:246], v[241:242], -v[0:1]
	v_fma_f64 v[245:246], v[247:248], v[241:242], v[2:3]
	ds_load_b128 v[0:3], v170 offset:17280
	ds_load_b128 v[12:15], v170 offset:19008
	s_wait_loadcnt_dscnt 0x101
	v_mul_f64_e32 v[177:178], v[2:3], v[173:174]
	v_mul_f64_e32 v[173:174], v[0:1], v[173:174]
	s_delay_alu instid0(VALU_DEP_2) | instskip(NEXT) | instid1(VALU_DEP_2)
	v_fma_f64 v[0:1], v[0:1], v[171:172], -v[177:178]
	v_fma_f64 v[2:3], v[2:3], v[171:172], v[173:174]
	v_mul_f64_e32 v[173:174], v[185:186], v[203:204]
	v_mul_f64_e32 v[177:178], v[207:208], v[219:220]
	;; [unrolled: 1-line block ×3, first 2 shown]
	s_delay_alu instid0(VALU_DEP_3) | instskip(NEXT) | instid1(VALU_DEP_3)
	v_fma_f64 v[173:174], v[187:188], v[201:202], v[173:174]
	v_fma_f64 v[183:184], v[205:206], v[217:218], -v[177:178]
	v_mul_f64_e32 v[177:178], v[223:224], v[235:236]
	v_mul_f64_e32 v[187:188], v[221:222], v[235:236]
	v_fma_f64 v[171:172], v[185:186], v[201:202], -v[171:172]
	v_mul_f64_e32 v[185:186], v[205:206], v[219:220]
	s_delay_alu instid0(VALU_DEP_4) | instskip(NEXT) | instid1(VALU_DEP_4)
	v_fma_f64 v[199:200], v[221:222], v[233:234], -v[177:178]
	v_fma_f64 v[201:202], v[223:224], v[233:234], v[187:188]
	v_mul_f64_e32 v[177:178], v[239:240], v[251:252]
	v_mul_f64_e32 v[187:188], v[237:238], v[251:252]
	v_fma_f64 v[185:186], v[207:208], v[217:218], v[185:186]
	s_delay_alu instid0(VALU_DEP_3) | instskip(NEXT) | instid1(VALU_DEP_3)
	v_fma_f64 v[203:204], v[237:238], v[249:250], -v[177:178]
	v_fma_f64 v[205:206], v[239:240], v[249:250], v[187:188]
	s_wait_loadcnt 0x0
	v_mul_f64_e32 v[177:178], v[10:11], v[6:7]
	v_mul_f64_e32 v[187:188], v[8:9], v[6:7]
	s_delay_alu instid0(VALU_DEP_2) | instskip(NEXT) | instid1(VALU_DEP_2)
	v_fma_f64 v[6:7], v[8:9], v[4:5], -v[177:178]
	v_fma_f64 v[8:9], v[10:11], v[4:5], v[187:188]
	s_wait_dscnt 0x0
	v_mul_f64_e32 v[4:5], v[14:15], v[191:192]
	v_mul_f64_e32 v[177:178], v[12:13], v[191:192]
	s_delay_alu instid0(VALU_DEP_2) | instskip(NEXT) | instid1(VALU_DEP_2)
	v_fma_f64 v[10:11], v[12:13], v[189:190], -v[4:5]
	v_fma_f64 v[12:13], v[14:15], v[189:190], v[177:178]
	ds_store_b128 v170, v[179:182]
	ds_store_b128 v170, v[171:174] offset:1728
	ds_store_b128 v170, v[195:198] offset:3456
	;; [unrolled: 1-line block ×11, first 2 shown]
	global_wb scope:SCOPE_SE
	s_wait_dscnt 0x0
	s_barrier_signal -1
	s_barrier_wait -1
	global_inv scope:SCOPE_SE
	ds_load_b128 v[0:3], v170 offset:6912
	ds_load_b128 v[4:7], v170
	ds_load_b128 v[8:11], v170 offset:1728
	ds_load_b128 v[12:15], v170 offset:8640
	;; [unrolled: 1-line block ×4, first 2 shown]
	s_wait_dscnt 0x4
	v_add_f64_e32 v[181:182], v[4:5], v[0:1]
	v_add_f64_e32 v[183:184], v[6:7], v[2:3]
	s_wait_dscnt 0x1
	v_add_f64_e32 v[197:198], v[0:1], v[171:172]
	v_add_f64_e32 v[199:200], v[2:3], v[173:174]
	v_add_f64_e64 v[201:202], v[2:3], -v[173:174]
	v_add_f64_e64 v[203:204], v[0:1], -v[171:172]
	v_add_f64_e32 v[205:206], v[181:182], v[171:172]
	v_add_f64_e32 v[207:208], v[183:184], v[173:174]
	ds_load_b128 v[0:3], v170 offset:10368
	ds_load_b128 v[171:174], v170 offset:3456
	;; [unrolled: 1-line block ×6, first 2 shown]
	v_fma_f64 v[197:198], v[197:198], -0.5, v[4:5]
	v_fma_f64 v[199:200], v[199:200], -0.5, v[6:7]
	global_wb scope:SCOPE_SE
	s_wait_dscnt 0x0
	s_barrier_signal -1
	s_barrier_wait -1
	global_inv scope:SCOPE_SE
	v_add_f64_e32 v[209:210], v[171:172], v[0:1]
	v_add_f64_e32 v[211:212], v[173:174], v[2:3]
	;; [unrolled: 1-line block ×4, first 2 shown]
	v_add_f64_e64 v[219:220], v[0:1], -v[189:190]
	v_add_f64_e64 v[217:218], v[2:3], -v[191:192]
	v_add_f64_e32 v[189:190], v[209:210], v[189:190]
	v_add_f64_e32 v[191:192], v[211:212], v[191:192]
	v_fma_f64 v[209:210], v[213:214], -0.5, v[173:174]
	v_fma_f64 v[211:212], v[215:216], -0.5, v[171:172]
	s_delay_alu instid0(VALU_DEP_4) | instskip(SKIP_1) | instid1(VALU_DEP_4)
	v_add_f64_e32 v[0:1], v[205:206], v[189:190]
	v_add_f64_e64 v[4:5], v[205:206], -v[189:190]
	v_fma_f64 v[171:172], v[219:220], s[2:3], v[209:210]
	s_delay_alu instid0(VALU_DEP_4)
	v_fma_f64 v[189:190], v[217:218], s[12:13], v[211:212]
	v_add_f64_e32 v[2:3], v[207:208], v[191:192]
	v_add_f64_e64 v[6:7], v[207:208], -v[191:192]
	v_fma_f64 v[207:208], v[203:204], s[2:3], v[199:200]
	v_fma_f64 v[203:204], v[203:204], s[12:13], v[199:200]
	v_mul_f64_e32 v[173:174], s[12:13], v[171:172]
	v_mul_f64_e32 v[171:172], 0.5, v[171:172]
	s_delay_alu instid0(VALU_DEP_2) | instskip(NEXT) | instid1(VALU_DEP_2)
	v_fma_f64 v[191:192], v[189:190], 0.5, v[173:174]
	v_fma_f64 v[205:206], v[189:190], s[2:3], v[171:172]
	v_fma_f64 v[189:190], v[201:202], s[12:13], v[197:198]
	;; [unrolled: 1-line block ×3, first 2 shown]
	s_delay_alu instid0(VALU_DEP_3) | instskip(NEXT) | instid1(VALU_DEP_3)
	v_add_f64_e32 v[173:174], v[207:208], v[205:206]
	v_add_f64_e32 v[171:172], v[189:190], v[191:192]
	v_add_f64_e64 v[189:190], v[189:190], -v[191:192]
	v_add_f64_e64 v[191:192], v[207:208], -v[205:206]
	v_fma_f64 v[205:206], v[219:220], s[12:13], v[209:210]
	v_fma_f64 v[207:208], v[217:218], s[2:3], v[211:212]
	s_delay_alu instid0(VALU_DEP_2) | instskip(SKIP_1) | instid1(VALU_DEP_2)
	v_mul_f64_e32 v[197:198], s[12:13], v[205:206]
	v_mul_f64_e32 v[199:200], -0.5, v[205:206]
	v_fma_f64 v[205:206], v[207:208], -0.5, v[197:198]
	s_delay_alu instid0(VALU_DEP_2) | instskip(NEXT) | instid1(VALU_DEP_2)
	v_fma_f64 v[207:208], v[207:208], s[2:3], v[199:200]
	v_add_f64_e32 v[197:198], v[201:202], v[205:206]
	s_delay_alu instid0(VALU_DEP_2)
	v_add_f64_e32 v[199:200], v[203:204], v[207:208]
	v_add_f64_e64 v[201:202], v[201:202], -v[205:206]
	v_add_f64_e64 v[203:204], v[203:204], -v[207:208]
	ds_store_b128 v254, v[0:3]
	ds_store_b128 v254, v[171:174] offset:16
	ds_store_b128 v254, v[4:7] offset:48
	;; [unrolled: 1-line block ×5, first 2 shown]
	v_add_f64_e32 v[0:1], v[8:9], v[12:13]
	v_add_f64_e32 v[2:3], v[10:11], v[14:15]
	v_add_f64_e32 v[4:5], v[12:13], v[177:178]
	v_add_f64_e64 v[173:174], v[12:13], -v[177:178]
	v_add_f64_e64 v[171:172], v[14:15], -v[179:180]
	v_add_f64_e32 v[6:7], v[14:15], v[179:180]
	v_add_f64_e32 v[12:13], v[0:1], v[177:178]
	;; [unrolled: 1-line block ×6, first 2 shown]
	v_add_f64_e64 v[185:186], v[185:186], -v[193:194]
	v_add_f64_e32 v[2:3], v[183:184], v[187:188]
	v_add_f64_e64 v[187:188], v[187:188], -v[195:196]
	v_fma_f64 v[177:178], v[177:178], -0.5, v[183:184]
	v_fma_f64 v[183:184], v[6:7], -0.5, v[10:11]
	v_add_f64_e32 v[189:190], v[0:1], v[193:194]
	v_fma_f64 v[179:180], v[179:180], -0.5, v[181:182]
	v_fma_f64 v[181:182], v[4:5], -0.5, v[8:9]
	v_add_f64_e32 v[191:192], v[2:3], v[195:196]
	v_fma_f64 v[8:9], v[185:186], s[2:3], v[177:178]
	v_fma_f64 v[177:178], v[185:186], s[12:13], v[177:178]
	v_add_f64_e32 v[0:1], v[12:13], v[189:190]
	v_add_f64_e64 v[4:5], v[12:13], -v[189:190]
	v_fma_f64 v[12:13], v[187:188], s[12:13], v[179:180]
	v_add_f64_e32 v[2:3], v[14:15], v[191:192]
	v_add_f64_e64 v[6:7], v[14:15], -v[191:192]
	v_fma_f64 v[191:192], v[173:174], s[2:3], v[183:184]
	v_fma_f64 v[179:180], v[187:188], s[2:3], v[179:180]
	;; [unrolled: 1-line block ×3, first 2 shown]
	v_mul_f64_e32 v[10:11], s[12:13], v[8:9]
	v_mul_f64_e32 v[8:9], 0.5, v[8:9]
	v_mul_f64_e32 v[173:174], -0.5, v[177:178]
	s_delay_alu instid0(VALU_DEP_3) | instskip(NEXT) | instid1(VALU_DEP_3)
	v_fma_f64 v[14:15], v[12:13], 0.5, v[10:11]
	v_fma_f64 v[189:190], v[12:13], s[2:3], v[8:9]
	v_fma_f64 v[12:13], v[171:172], s[12:13], v[181:182]
	;; [unrolled: 1-line block ×3, first 2 shown]
	v_mul_f64_e32 v[171:172], s[12:13], v[177:178]
	s_delay_alu instid0(VALU_DEP_4) | instskip(NEXT) | instid1(VALU_DEP_4)
	v_add_f64_e32 v[10:11], v[191:192], v[189:190]
	v_add_f64_e32 v[8:9], v[12:13], v[14:15]
	v_add_f64_e64 v[12:13], v[12:13], -v[14:15]
	s_delay_alu instid0(VALU_DEP_4) | instskip(SKIP_2) | instid1(VALU_DEP_3)
	v_fma_f64 v[177:178], v[179:180], -0.5, v[171:172]
	v_fma_f64 v[179:180], v[179:180], s[2:3], v[173:174]
	v_add_f64_e64 v[14:15], v[191:192], -v[189:190]
	v_add_f64_e32 v[171:172], v[181:182], v[177:178]
	s_delay_alu instid0(VALU_DEP_3)
	v_add_f64_e32 v[173:174], v[183:184], v[179:180]
	v_add_f64_e64 v[177:178], v[181:182], -v[177:178]
	v_add_f64_e64 v[179:180], v[183:184], -v[179:180]
	ds_store_b128 v253, v[0:3]
	ds_store_b128 v253, v[8:11] offset:16
	ds_store_b128 v253, v[171:174] offset:32
	;; [unrolled: 1-line block ×5, first 2 shown]
	global_wb scope:SCOPE_SE
	s_wait_dscnt 0x0
	s_barrier_signal -1
	s_barrier_wait -1
	global_inv scope:SCOPE_SE
	ds_load_b128 v[0:3], v170 offset:10368
	ds_load_b128 v[4:7], v170 offset:12096
	s_wait_dscnt 0x1
	v_mul_f64_e32 v[8:9], v[50:51], v[0:1]
	s_delay_alu instid0(VALU_DEP_1) | instskip(SKIP_1) | instid1(VALU_DEP_1)
	v_fma_f64 v[171:172], v[48:49], v[2:3], -v[8:9]
	v_mul_f64_e32 v[2:3], v[50:51], v[2:3]
	v_fma_f64 v[48:49], v[48:49], v[0:1], v[2:3]
	ds_load_b128 v[0:3], v170 offset:17280
	ds_load_b128 v[8:11], v170 offset:19008
	s_wait_dscnt 0x1
	v_mul_f64_e32 v[12:13], v[86:87], v[0:1]
	s_delay_alu instid0(VALU_DEP_1) | instskip(SKIP_1) | instid1(VALU_DEP_1)
	v_fma_f64 v[50:51], v[84:85], v[2:3], -v[12:13]
	v_mul_f64_e32 v[2:3], v[86:87], v[2:3]
	v_fma_f64 v[84:85], v[84:85], v[0:1], v[2:3]
	v_mul_f64_e32 v[0:1], v[90:91], v[4:5]
	s_delay_alu instid0(VALU_DEP_1) | instskip(SKIP_1) | instid1(VALU_DEP_1)
	v_fma_f64 v[86:87], v[88:89], v[6:7], -v[0:1]
	v_mul_f64_e32 v[0:1], v[90:91], v[6:7]
	v_fma_f64 v[88:89], v[88:89], v[4:5], v[0:1]
	s_wait_dscnt 0x0
	v_mul_f64_e32 v[0:1], v[98:99], v[8:9]
	s_delay_alu instid0(VALU_DEP_1) | instskip(SKIP_1) | instid1(VALU_DEP_1)
	v_fma_f64 v[90:91], v[96:97], v[10:11], -v[0:1]
	v_mul_f64_e32 v[0:1], v[98:99], v[10:11]
	v_fma_f64 v[96:97], v[96:97], v[8:9], v[0:1]
	ds_load_b128 v[0:3], v170 offset:6912
	ds_load_b128 v[4:7], v170 offset:8640
	s_wait_dscnt 0x1
	v_mul_f64_e32 v[8:9], v[78:79], v[2:3]
	s_delay_alu instid0(VALU_DEP_1) | instskip(SKIP_1) | instid1(VALU_DEP_1)
	v_fma_f64 v[98:99], v[76:77], v[0:1], v[8:9]
	v_mul_f64_e32 v[0:1], v[78:79], v[0:1]
	v_fma_f64 v[76:77], v[76:77], v[2:3], -v[0:1]
	ds_load_b128 v[0:3], v170 offset:13824
	ds_load_b128 v[8:11], v170 offset:15552
	s_wait_dscnt 0x1
	v_mul_f64_e32 v[12:13], v[62:63], v[2:3]
	s_delay_alu instid0(VALU_DEP_1) | instskip(SKIP_1) | instid1(VALU_DEP_1)
	v_fma_f64 v[78:79], v[60:61], v[0:1], v[12:13]
	v_mul_f64_e32 v[0:1], v[62:63], v[0:1]
	v_fma_f64 v[60:61], v[60:61], v[2:3], -v[0:1]
	ds_load_b128 v[0:3], v170 offset:3456
	ds_load_b128 v[12:15], v170 offset:5184
	s_wait_dscnt 0x1
	v_mul_f64_e32 v[62:63], v[74:75], v[0:1]
	s_delay_alu instid0(VALU_DEP_1) | instskip(SKIP_1) | instid1(VALU_DEP_1)
	v_fma_f64 v[62:63], v[72:73], v[2:3], -v[62:63]
	v_mul_f64_e32 v[2:3], v[74:75], v[2:3]
	v_fma_f64 v[72:73], v[72:73], v[0:1], v[2:3]
	v_mul_f64_e32 v[0:1], v[66:67], v[6:7]
	s_delay_alu instid0(VALU_DEP_1) | instskip(SKIP_1) | instid1(VALU_DEP_1)
	v_fma_f64 v[74:75], v[64:65], v[4:5], v[0:1]
	v_mul_f64_e32 v[0:1], v[66:67], v[4:5]
	v_fma_f64 v[64:65], v[64:65], v[6:7], -v[0:1]
	v_mul_f64_e32 v[0:1], v[70:71], v[10:11]
	s_delay_alu instid0(VALU_DEP_1) | instskip(SKIP_2) | instid1(VALU_DEP_2)
	v_fma_f64 v[66:67], v[68:69], v[8:9], v[0:1]
	v_mul_f64_e32 v[0:1], v[70:71], v[8:9]
	v_add_f64_e32 v[8:9], v[98:99], v[78:79]
	v_fma_f64 v[68:69], v[68:69], v[10:11], -v[0:1]
	s_wait_dscnt 0x0
	v_mul_f64_e32 v[0:1], v[58:59], v[12:13]
	s_delay_alu instid0(VALU_DEP_1) | instskip(SKIP_1) | instid1(VALU_DEP_1)
	v_fma_f64 v[70:71], v[56:57], v[14:15], -v[0:1]
	v_mul_f64_e32 v[0:1], v[58:59], v[14:15]
	v_fma_f64 v[173:174], v[56:57], v[12:13], v[0:1]
	ds_load_b128 v[0:3], v170
	ds_load_b128 v[4:7], v170 offset:1728
	global_wb scope:SCOPE_SE
	s_wait_dscnt 0x0
	s_barrier_signal -1
	s_barrier_wait -1
	global_inv scope:SCOPE_SE
	v_fma_f64 v[56:57], v[8:9], -0.5, v[0:1]
	v_add_f64_e32 v[8:9], v[76:77], v[60:61]
	v_add_f64_e32 v[0:1], v[0:1], v[98:99]
	s_delay_alu instid0(VALU_DEP_2) | instskip(NEXT) | instid1(VALU_DEP_2)
	v_fma_f64 v[58:59], v[8:9], -0.5, v[2:3]
	v_add_f64_e32 v[8:9], v[0:1], v[78:79]
	v_add_f64_e32 v[0:1], v[72:73], v[48:49]
	;; [unrolled: 1-line block ×3, first 2 shown]
	s_delay_alu instid0(VALU_DEP_2) | instskip(SKIP_1) | instid1(VALU_DEP_3)
	v_add_f64_e32 v[12:13], v[0:1], v[84:85]
	v_add_f64_e32 v[0:1], v[62:63], v[171:172]
	;; [unrolled: 1-line block ×3, first 2 shown]
	v_add_f64_e64 v[60:61], v[76:77], -v[60:61]
	v_add_f64_e64 v[76:77], v[98:99], -v[78:79]
	s_delay_alu instid0(VALU_DEP_4)
	v_add_f64_e32 v[14:15], v[0:1], v[50:51]
	v_add_f64_e32 v[0:1], v[8:9], v[12:13]
	v_add_f64_e64 v[8:9], v[8:9], -v[12:13]
	v_add_f64_e32 v[12:13], v[48:49], v[84:85]
	v_add_f64_e64 v[84:85], v[48:49], -v[84:85]
	v_fma_f64 v[98:99], v[76:77], s[2:3], v[58:59]
	v_fma_f64 v[76:77], v[76:77], s[12:13], v[58:59]
	v_add_f64_e32 v[2:3], v[10:11], v[14:15]
	v_add_f64_e64 v[10:11], v[10:11], -v[14:15]
	v_add_f64_e32 v[14:15], v[171:172], v[50:51]
	v_add_f64_e64 v[171:172], v[171:172], -v[50:51]
	v_fma_f64 v[72:73], v[12:13], -0.5, v[72:73]
	s_delay_alu instid0(VALU_DEP_3) | instskip(NEXT) | instid1(VALU_DEP_2)
	v_fma_f64 v[62:63], v[14:15], -0.5, v[62:63]
	v_fma_f64 v[48:49], v[171:172], s[12:13], v[72:73]
	v_fma_f64 v[72:73], v[171:172], s[2:3], v[72:73]
	s_delay_alu instid0(VALU_DEP_3) | instskip(SKIP_1) | instid1(VALU_DEP_2)
	v_fma_f64 v[12:13], v[84:85], s[2:3], v[62:63]
	v_fma_f64 v[62:63], v[84:85], s[12:13], v[62:63]
	v_mul_f64_e32 v[14:15], s[12:13], v[12:13]
	v_mul_f64_e32 v[12:13], 0.5, v[12:13]
	s_delay_alu instid0(VALU_DEP_3) | instskip(NEXT) | instid1(VALU_DEP_3)
	v_mul_f64_e32 v[58:59], -0.5, v[62:63]
	v_fma_f64 v[50:51], v[48:49], 0.5, v[14:15]
	s_delay_alu instid0(VALU_DEP_3) | instskip(SKIP_3) | instid1(VALU_DEP_4)
	v_fma_f64 v[78:79], v[48:49], s[2:3], v[12:13]
	v_fma_f64 v[48:49], v[60:61], s[12:13], v[56:57]
	;; [unrolled: 1-line block ×3, first 2 shown]
	v_mul_f64_e32 v[56:57], s[12:13], v[62:63]
	v_add_f64_e32 v[14:15], v[98:99], v[78:79]
	s_delay_alu instid0(VALU_DEP_4) | instskip(SKIP_1) | instid1(VALU_DEP_4)
	v_add_f64_e32 v[12:13], v[48:49], v[50:51]
	v_add_f64_e64 v[48:49], v[48:49], -v[50:51]
	v_fma_f64 v[62:63], v[72:73], -0.5, v[56:57]
	v_fma_f64 v[72:73], v[72:73], s[2:3], v[58:59]
	v_add_f64_e64 v[50:51], v[98:99], -v[78:79]
	s_delay_alu instid0(VALU_DEP_3) | instskip(NEXT) | instid1(VALU_DEP_3)
	v_add_f64_e32 v[56:57], v[60:61], v[62:63]
	v_add_f64_e32 v[58:59], v[76:77], v[72:73]
	v_add_f64_e64 v[60:61], v[60:61], -v[62:63]
	v_add_f64_e64 v[62:63], v[76:77], -v[72:73]
	ds_store_b128 v168, v[0:3]
	ds_store_b128 v168, v[12:15] offset:96
	ds_store_b128 v168, v[8:11] offset:288
	;; [unrolled: 1-line block ×5, first 2 shown]
	v_add_f64_e32 v[0:1], v[74:75], v[66:67]
	v_add_f64_e32 v[2:3], v[6:7], v[64:65]
	v_add_f64_e64 v[56:57], v[88:89], -v[96:97]
	v_add_f64_e64 v[60:61], v[86:87], -v[90:91]
	v_add_f64_e64 v[62:63], v[64:65], -v[68:69]
	v_fma_f64 v[48:49], v[0:1], -0.5, v[4:5]
	v_add_f64_e32 v[0:1], v[64:65], v[68:69]
	v_add_f64_e64 v[64:65], v[74:75], -v[66:67]
	s_delay_alu instid0(VALU_DEP_2) | instskip(SKIP_2) | instid1(VALU_DEP_2)
	v_fma_f64 v[50:51], v[0:1], -0.5, v[6:7]
	v_add_f64_e32 v[0:1], v[4:5], v[74:75]
	v_add_f64_e32 v[6:7], v[2:3], v[68:69]
	v_add_f64_e32 v[4:5], v[0:1], v[66:67]
	v_add_f64_e32 v[0:1], v[173:174], v[88:89]
	s_delay_alu instid0(VALU_DEP_1) | instskip(SKIP_1) | instid1(VALU_DEP_1)
	v_add_f64_e32 v[8:9], v[0:1], v[96:97]
	v_add_f64_e32 v[0:1], v[70:71], v[86:87]
	;; [unrolled: 1-line block ×3, first 2 shown]
	s_delay_alu instid0(VALU_DEP_3) | instskip(SKIP_2) | instid1(VALU_DEP_4)
	v_add_f64_e32 v[0:1], v[4:5], v[8:9]
	v_add_f64_e64 v[4:5], v[4:5], -v[8:9]
	v_add_f64_e32 v[8:9], v[88:89], v[96:97]
	v_add_f64_e32 v[2:3], v[6:7], v[10:11]
	v_add_f64_e64 v[6:7], v[6:7], -v[10:11]
	v_add_f64_e32 v[10:11], v[86:87], v[90:91]
	s_delay_alu instid0(VALU_DEP_4) | instskip(NEXT) | instid1(VALU_DEP_2)
	v_fma_f64 v[66:67], v[8:9], -0.5, v[173:174]
	v_fma_f64 v[58:59], v[10:11], -0.5, v[70:71]
	s_delay_alu instid0(VALU_DEP_2) | instskip(SKIP_1) | instid1(VALU_DEP_3)
	v_fma_f64 v[12:13], v[60:61], s[12:13], v[66:67]
	v_fma_f64 v[70:71], v[64:65], s[2:3], v[50:51]
	v_fma_f64 v[8:9], v[56:57], s[2:3], v[58:59]
	v_fma_f64 v[56:57], v[56:57], s[12:13], v[58:59]
	v_fma_f64 v[58:59], v[60:61], s[2:3], v[66:67]
	v_fma_f64 v[60:61], v[62:63], s[2:3], v[48:49]
	s_delay_alu instid0(VALU_DEP_4) | instskip(SKIP_1) | instid1(VALU_DEP_2)
	v_mul_f64_e32 v[10:11], s[12:13], v[8:9]
	v_mul_f64_e32 v[8:9], 0.5, v[8:9]
	v_fma_f64 v[14:15], v[12:13], 0.5, v[10:11]
	s_delay_alu instid0(VALU_DEP_2)
	v_fma_f64 v[68:69], v[12:13], s[2:3], v[8:9]
	v_fma_f64 v[12:13], v[62:63], s[12:13], v[48:49]
	;; [unrolled: 1-line block ×3, first 2 shown]
	v_mul_f64_e32 v[48:49], s[12:13], v[56:57]
	v_mul_f64_e32 v[50:51], -0.5, v[56:57]
	v_add_f64_e32 v[10:11], v[70:71], v[68:69]
	v_add_f64_e32 v[8:9], v[12:13], v[14:15]
	v_add_f64_e64 v[12:13], v[12:13], -v[14:15]
	v_fma_f64 v[56:57], v[58:59], -0.5, v[48:49]
	v_fma_f64 v[58:59], v[58:59], s[2:3], v[50:51]
	v_add_f64_e64 v[14:15], v[70:71], -v[68:69]
	s_delay_alu instid0(VALU_DEP_3) | instskip(NEXT) | instid1(VALU_DEP_3)
	v_add_f64_e32 v[48:49], v[60:61], v[56:57]
	v_add_f64_e32 v[50:51], v[62:63], v[58:59]
	v_add_f64_e64 v[56:57], v[60:61], -v[56:57]
	v_add_f64_e64 v[58:59], v[62:63], -v[58:59]
	ds_store_b128 v255, v[0:3]
	ds_store_b128 v255, v[8:11] offset:96
	ds_store_b128 v255, v[48:51] offset:192
	;; [unrolled: 1-line block ×5, first 2 shown]
	global_wb scope:SCOPE_SE
	s_wait_dscnt 0x0
	s_barrier_signal -1
	s_barrier_wait -1
	global_inv scope:SCOPE_SE
	ds_load_b128 v[0:3], v170 offset:10368
	ds_load_b128 v[4:7], v170 offset:12096
	s_wait_dscnt 0x1
	v_mul_f64_e32 v[8:9], v[82:83], v[0:1]
	s_delay_alu instid0(VALU_DEP_1) | instskip(SKIP_1) | instid1(VALU_DEP_1)
	v_fma_f64 v[48:49], v[80:81], v[2:3], -v[8:9]
	v_mul_f64_e32 v[2:3], v[82:83], v[2:3]
	v_fma_f64 v[50:51], v[80:81], v[0:1], v[2:3]
	ds_load_b128 v[0:3], v170 offset:17280
	ds_load_b128 v[8:11], v170 offset:19008
	s_wait_dscnt 0x1
	v_mul_f64_e32 v[12:13], v[142:143], v[0:1]
	s_delay_alu instid0(VALU_DEP_1) | instskip(SKIP_1) | instid1(VALU_DEP_1)
	v_fma_f64 v[56:57], v[140:141], v[2:3], -v[12:13]
	v_mul_f64_e32 v[2:3], v[142:143], v[2:3]
	v_fma_f64 v[58:59], v[140:141], v[0:1], v[2:3]
	v_mul_f64_e32 v[0:1], v[146:147], v[4:5]
	s_delay_alu instid0(VALU_DEP_1) | instskip(SKIP_1) | instid1(VALU_DEP_1)
	v_fma_f64 v[64:65], v[144:145], v[6:7], -v[0:1]
	v_mul_f64_e32 v[0:1], v[146:147], v[6:7]
	v_fma_f64 v[66:67], v[144:145], v[4:5], v[0:1]
	s_wait_dscnt 0x0
	v_mul_f64_e32 v[0:1], v[150:151], v[8:9]
	s_delay_alu instid0(VALU_DEP_1) | instskip(SKIP_1) | instid1(VALU_DEP_1)
	v_fma_f64 v[68:69], v[148:149], v[10:11], -v[0:1]
	v_mul_f64_e32 v[0:1], v[150:151], v[10:11]
	v_fma_f64 v[70:71], v[148:149], v[8:9], v[0:1]
	ds_load_b128 v[0:3], v170 offset:6912
	ds_load_b128 v[4:7], v170 offset:8640
	s_wait_dscnt 0x1
	v_mul_f64_e32 v[8:9], v[130:131], v[2:3]
	s_delay_alu instid0(VALU_DEP_1) | instskip(SKIP_1) | instid1(VALU_DEP_1)
	v_fma_f64 v[60:61], v[128:129], v[0:1], v[8:9]
	v_mul_f64_e32 v[0:1], v[130:131], v[0:1]
	v_fma_f64 v[62:63], v[128:129], v[2:3], -v[0:1]
	ds_load_b128 v[0:3], v170 offset:13824
	ds_load_b128 v[8:11], v170 offset:15552
	s_wait_dscnt 0x1
	v_mul_f64_e32 v[12:13], v[106:107], v[2:3]
	s_delay_alu instid0(VALU_DEP_1) | instskip(SKIP_1) | instid1(VALU_DEP_1)
	v_fma_f64 v[72:73], v[104:105], v[0:1], v[12:13]
	v_mul_f64_e32 v[0:1], v[106:107], v[0:1]
	v_fma_f64 v[74:75], v[104:105], v[2:3], -v[0:1]
	ds_load_b128 v[0:3], v170 offset:3456
	ds_load_b128 v[12:15], v170 offset:5184
	s_wait_dscnt 0x1
	v_mul_f64_e32 v[76:77], v[122:123], v[0:1]
	s_delay_alu instid0(VALU_DEP_1) | instskip(SKIP_1) | instid1(VALU_DEP_1)
	v_fma_f64 v[76:77], v[120:121], v[2:3], -v[76:77]
	v_mul_f64_e32 v[2:3], v[122:123], v[2:3]
	v_fma_f64 v[78:79], v[120:121], v[0:1], v[2:3]
	v_mul_f64_e32 v[0:1], v[110:111], v[6:7]
	s_delay_alu instid0(VALU_DEP_1) | instskip(SKIP_1) | instid1(VALU_DEP_1)
	v_fma_f64 v[80:81], v[108:109], v[4:5], v[0:1]
	v_mul_f64_e32 v[0:1], v[110:111], v[4:5]
	v_fma_f64 v[82:83], v[108:109], v[6:7], -v[0:1]
	v_mul_f64_e32 v[0:1], v[114:115], v[10:11]
	s_delay_alu instid0(VALU_DEP_1) | instskip(SKIP_2) | instid1(VALU_DEP_2)
	v_fma_f64 v[84:85], v[112:113], v[8:9], v[0:1]
	v_mul_f64_e32 v[0:1], v[114:115], v[8:9]
	v_add_f64_e32 v[8:9], v[60:61], v[72:73]
	v_fma_f64 v[86:87], v[112:113], v[10:11], -v[0:1]
	s_wait_dscnt 0x0
	v_mul_f64_e32 v[0:1], v[102:103], v[12:13]
	s_delay_alu instid0(VALU_DEP_1) | instskip(SKIP_1) | instid1(VALU_DEP_1)
	v_fma_f64 v[88:89], v[100:101], v[14:15], -v[0:1]
	v_mul_f64_e32 v[0:1], v[102:103], v[14:15]
	v_fma_f64 v[90:91], v[100:101], v[12:13], v[0:1]
	ds_load_b128 v[0:3], v170
	ds_load_b128 v[4:7], v170 offset:1728
	global_wb scope:SCOPE_SE
	s_wait_dscnt 0x0
	s_barrier_signal -1
	s_barrier_wait -1
	global_inv scope:SCOPE_SE
	v_fma_f64 v[96:97], v[8:9], -0.5, v[0:1]
	v_add_f64_e32 v[8:9], v[62:63], v[74:75]
	v_add_f64_e32 v[0:1], v[0:1], v[60:61]
	v_add_f64_e64 v[60:61], v[60:61], -v[72:73]
	s_delay_alu instid0(VALU_DEP_3) | instskip(NEXT) | instid1(VALU_DEP_3)
	v_fma_f64 v[98:99], v[8:9], -0.5, v[2:3]
	v_add_f64_e32 v[8:9], v[0:1], v[72:73]
	v_add_f64_e32 v[0:1], v[78:79], v[50:51]
	;; [unrolled: 1-line block ×3, first 2 shown]
	v_add_f64_e64 v[62:63], v[62:63], -v[74:75]
	s_delay_alu instid0(VALU_DEP_3) | instskip(SKIP_1) | instid1(VALU_DEP_4)
	v_add_f64_e32 v[12:13], v[0:1], v[58:59]
	v_add_f64_e32 v[0:1], v[76:77], v[48:49]
	;; [unrolled: 1-line block ×3, first 2 shown]
	s_delay_alu instid0(VALU_DEP_2) | instskip(NEXT) | instid1(VALU_DEP_4)
	v_add_f64_e32 v[14:15], v[0:1], v[56:57]
	v_add_f64_e32 v[0:1], v[8:9], v[12:13]
	v_add_f64_e64 v[8:9], v[8:9], -v[12:13]
	v_add_f64_e32 v[12:13], v[50:51], v[58:59]
	v_add_f64_e64 v[58:59], v[50:51], -v[58:59]
	;; [unrolled: 2-line block ×4, first 2 shown]
	v_fma_f64 v[72:73], v[12:13], -0.5, v[78:79]
	v_fma_f64 v[78:79], v[60:61], s[2:3], v[98:99]
	s_delay_alu instid0(VALU_DEP_4) | instskip(NEXT) | instid1(VALU_DEP_3)
	v_fma_f64 v[76:77], v[14:15], -0.5, v[76:77]
	v_fma_f64 v[48:49], v[56:57], s[12:13], v[72:73]
	v_fma_f64 v[56:57], v[56:57], s[2:3], v[72:73]
	;; [unrolled: 1-line block ×3, first 2 shown]
	s_delay_alu instid0(VALU_DEP_4) | instskip(SKIP_1) | instid1(VALU_DEP_2)
	v_fma_f64 v[12:13], v[58:59], s[2:3], v[76:77]
	v_fma_f64 v[58:59], v[58:59], s[12:13], v[76:77]
	v_mul_f64_e32 v[14:15], s[12:13], v[12:13]
	v_mul_f64_e32 v[12:13], 0.5, v[12:13]
	s_delay_alu instid0(VALU_DEP_3) | instskip(SKIP_1) | instid1(VALU_DEP_4)
	v_mul_f64_e32 v[60:61], s[12:13], v[58:59]
	v_mul_f64_e32 v[58:59], -0.5, v[58:59]
	v_fma_f64 v[50:51], v[48:49], 0.5, v[14:15]
	s_delay_alu instid0(VALU_DEP_4) | instskip(SKIP_3) | instid1(VALU_DEP_4)
	v_fma_f64 v[74:75], v[48:49], s[2:3], v[12:13]
	v_fma_f64 v[48:49], v[62:63], s[12:13], v[96:97]
	;; [unrolled: 1-line block ×3, first 2 shown]
	v_fma_f64 v[60:61], v[56:57], -0.5, v[60:61]
	v_add_f64_e32 v[14:15], v[78:79], v[74:75]
	s_delay_alu instid0(VALU_DEP_4)
	v_add_f64_e32 v[12:13], v[48:49], v[50:51]
	v_add_f64_e64 v[48:49], v[48:49], -v[50:51]
	v_add_f64_e64 v[50:51], v[78:79], -v[74:75]
	v_fma_f64 v[74:75], v[56:57], s[2:3], v[58:59]
	v_add_f64_e32 v[56:57], v[62:63], v[60:61]
	v_add_f64_e64 v[60:61], v[62:63], -v[60:61]
	s_delay_alu instid0(VALU_DEP_3)
	v_add_f64_e32 v[58:59], v[72:73], v[74:75]
	v_add_f64_e64 v[62:63], v[72:73], -v[74:75]
	ds_store_b128 v176, v[0:3]
	ds_store_b128 v176, v[12:15] offset:576
	ds_store_b128 v176, v[8:11] offset:1728
	;; [unrolled: 1-line block ×5, first 2 shown]
	v_add_f64_e32 v[0:1], v[80:81], v[84:85]
	v_add_f64_e32 v[2:3], v[6:7], v[82:83]
	v_add_f64_e64 v[56:57], v[66:67], -v[70:71]
	v_add_f64_e64 v[60:61], v[64:65], -v[68:69]
	;; [unrolled: 1-line block ×3, first 2 shown]
	v_fma_f64 v[48:49], v[0:1], -0.5, v[4:5]
	v_add_f64_e32 v[0:1], v[82:83], v[86:87]
	s_delay_alu instid0(VALU_DEP_1) | instskip(SKIP_2) | instid1(VALU_DEP_2)
	v_fma_f64 v[50:51], v[0:1], -0.5, v[6:7]
	v_add_f64_e32 v[0:1], v[4:5], v[80:81]
	v_add_f64_e32 v[6:7], v[2:3], v[86:87]
	v_add_f64_e32 v[4:5], v[0:1], v[84:85]
	v_add_f64_e32 v[0:1], v[90:91], v[66:67]
	s_delay_alu instid0(VALU_DEP_1) | instskip(SKIP_1) | instid1(VALU_DEP_1)
	v_add_f64_e32 v[8:9], v[0:1], v[70:71]
	v_add_f64_e32 v[0:1], v[88:89], v[64:65]
	;; [unrolled: 1-line block ×3, first 2 shown]
	s_delay_alu instid0(VALU_DEP_3) | instskip(SKIP_2) | instid1(VALU_DEP_4)
	v_add_f64_e32 v[0:1], v[4:5], v[8:9]
	v_add_f64_e64 v[4:5], v[4:5], -v[8:9]
	v_add_f64_e32 v[8:9], v[66:67], v[70:71]
	v_add_f64_e32 v[2:3], v[6:7], v[10:11]
	v_add_f64_e64 v[6:7], v[6:7], -v[10:11]
	v_add_f64_e32 v[10:11], v[64:65], v[68:69]
	s_delay_alu instid0(VALU_DEP_4) | instskip(SKIP_1) | instid1(VALU_DEP_3)
	v_fma_f64 v[66:67], v[8:9], -0.5, v[90:91]
	v_add_f64_e64 v[64:65], v[80:81], -v[84:85]
	v_fma_f64 v[58:59], v[10:11], -0.5, v[88:89]
	s_delay_alu instid0(VALU_DEP_3) | instskip(NEXT) | instid1(VALU_DEP_3)
	v_fma_f64 v[12:13], v[60:61], s[12:13], v[66:67]
	v_fma_f64 v[70:71], v[64:65], s[2:3], v[50:51]
	s_delay_alu instid0(VALU_DEP_3) | instskip(SKIP_3) | instid1(VALU_DEP_4)
	v_fma_f64 v[8:9], v[56:57], s[2:3], v[58:59]
	v_fma_f64 v[56:57], v[56:57], s[12:13], v[58:59]
	v_fma_f64 v[58:59], v[60:61], s[2:3], v[66:67]
	v_fma_f64 v[60:61], v[62:63], s[2:3], v[48:49]
	v_mul_f64_e32 v[10:11], s[12:13], v[8:9]
	v_mul_f64_e32 v[8:9], 0.5, v[8:9]
	s_delay_alu instid0(VALU_DEP_2) | instskip(NEXT) | instid1(VALU_DEP_2)
	v_fma_f64 v[14:15], v[12:13], 0.5, v[10:11]
	v_fma_f64 v[68:69], v[12:13], s[2:3], v[8:9]
	v_fma_f64 v[12:13], v[62:63], s[12:13], v[48:49]
	;; [unrolled: 1-line block ×3, first 2 shown]
	v_mul_f64_e32 v[48:49], s[12:13], v[56:57]
	v_mul_f64_e32 v[50:51], -0.5, v[56:57]
	v_add_f64_e32 v[10:11], v[70:71], v[68:69]
	v_add_f64_e32 v[8:9], v[12:13], v[14:15]
	v_add_f64_e64 v[12:13], v[12:13], -v[14:15]
	v_fma_f64 v[56:57], v[58:59], -0.5, v[48:49]
	v_fma_f64 v[58:59], v[58:59], s[2:3], v[50:51]
	v_add_f64_e64 v[14:15], v[70:71], -v[68:69]
	s_delay_alu instid0(VALU_DEP_3) | instskip(NEXT) | instid1(VALU_DEP_3)
	v_add_f64_e32 v[48:49], v[60:61], v[56:57]
	v_add_f64_e32 v[50:51], v[62:63], v[58:59]
	v_add_f64_e64 v[56:57], v[60:61], -v[56:57]
	v_add_f64_e64 v[58:59], v[62:63], -v[58:59]
	ds_store_b128 v175, v[0:3]
	ds_store_b128 v175, v[8:11] offset:576
	ds_store_b128 v175, v[48:51] offset:1152
	;; [unrolled: 1-line block ×5, first 2 shown]
	global_wb scope:SCOPE_SE
	s_wait_dscnt 0x0
	s_barrier_signal -1
	s_barrier_wait -1
	global_inv scope:SCOPE_SE
	ds_load_b128 v[0:3], v170 offset:10368
	ds_load_b128 v[4:7], v170 offset:12096
	s_wait_dscnt 0x1
	v_mul_f64_e32 v[8:9], v[158:159], v[0:1]
	s_delay_alu instid0(VALU_DEP_1) | instskip(SKIP_1) | instid1(VALU_DEP_1)
	v_fma_f64 v[48:49], v[156:157], v[2:3], -v[8:9]
	v_mul_f64_e32 v[2:3], v[158:159], v[2:3]
	v_fma_f64 v[50:51], v[156:157], v[0:1], v[2:3]
	ds_load_b128 v[0:3], v170 offset:17280
	ds_load_b128 v[8:11], v170 offset:19008
	s_wait_dscnt 0x1
	v_mul_f64_e32 v[12:13], v[154:155], v[0:1]
	s_delay_alu instid0(VALU_DEP_1) | instskip(SKIP_1) | instid1(VALU_DEP_1)
	v_fma_f64 v[56:57], v[152:153], v[2:3], -v[12:13]
	v_mul_f64_e32 v[2:3], v[154:155], v[2:3]
	v_fma_f64 v[58:59], v[152:153], v[0:1], v[2:3]
	v_mul_f64_e32 v[0:1], v[162:163], v[4:5]
	s_delay_alu instid0(VALU_DEP_1) | instskip(SKIP_1) | instid1(VALU_DEP_1)
	v_fma_f64 v[64:65], v[160:161], v[6:7], -v[0:1]
	v_mul_f64_e32 v[0:1], v[162:163], v[6:7]
	v_fma_f64 v[66:67], v[160:161], v[4:5], v[0:1]
	s_wait_dscnt 0x0
	v_mul_f64_e32 v[0:1], v[166:167], v[8:9]
	s_delay_alu instid0(VALU_DEP_1) | instskip(SKIP_1) | instid1(VALU_DEP_1)
	v_fma_f64 v[68:69], v[164:165], v[10:11], -v[0:1]
	v_mul_f64_e32 v[0:1], v[166:167], v[10:11]
	v_fma_f64 v[70:71], v[164:165], v[8:9], v[0:1]
	ds_load_b128 v[0:3], v170 offset:6912
	ds_load_b128 v[4:7], v170 offset:8640
	s_wait_dscnt 0x1
	v_mul_f64_e32 v[8:9], v[94:95], v[2:3]
	s_delay_alu instid0(VALU_DEP_1) | instskip(SKIP_1) | instid1(VALU_DEP_1)
	v_fma_f64 v[60:61], v[92:93], v[0:1], v[8:9]
	v_mul_f64_e32 v[0:1], v[94:95], v[0:1]
	v_fma_f64 v[62:63], v[92:93], v[2:3], -v[0:1]
	ds_load_b128 v[0:3], v170 offset:13824
	ds_load_b128 v[8:11], v170 offset:15552
	s_wait_dscnt 0x1
	v_mul_f64_e32 v[12:13], v[118:119], v[2:3]
	s_delay_alu instid0(VALU_DEP_1) | instskip(SKIP_1) | instid1(VALU_DEP_1)
	v_fma_f64 v[72:73], v[116:117], v[0:1], v[12:13]
	v_mul_f64_e32 v[0:1], v[118:119], v[0:1]
	v_fma_f64 v[74:75], v[116:117], v[2:3], -v[0:1]
	ds_load_b128 v[0:3], v170 offset:3456
	ds_load_b128 v[12:15], v170 offset:5184
	s_wait_dscnt 0x1
	v_mul_f64_e32 v[76:77], v[54:55], v[0:1]
	s_delay_alu instid0(VALU_DEP_1) | instskip(SKIP_1) | instid1(VALU_DEP_1)
	v_fma_f64 v[76:77], v[52:53], v[2:3], -v[76:77]
	v_mul_f64_e32 v[2:3], v[54:55], v[2:3]
	v_fma_f64 v[52:53], v[52:53], v[0:1], v[2:3]
	v_mul_f64_e32 v[0:1], v[134:135], v[6:7]
	s_delay_alu instid0(VALU_DEP_1) | instskip(SKIP_1) | instid1(VALU_DEP_1)
	v_fma_f64 v[78:79], v[132:133], v[4:5], v[0:1]
	v_mul_f64_e32 v[0:1], v[134:135], v[4:5]
	v_fma_f64 v[80:81], v[132:133], v[6:7], -v[0:1]
	v_mul_f64_e32 v[0:1], v[138:139], v[10:11]
	s_delay_alu instid0(VALU_DEP_1) | instskip(SKIP_2) | instid1(VALU_DEP_2)
	v_fma_f64 v[82:83], v[136:137], v[8:9], v[0:1]
	v_mul_f64_e32 v[0:1], v[138:139], v[8:9]
	v_add_f64_e32 v[8:9], v[60:61], v[72:73]
	v_fma_f64 v[84:85], v[136:137], v[10:11], -v[0:1]
	s_wait_dscnt 0x0
	v_mul_f64_e32 v[0:1], v[126:127], v[12:13]
	s_delay_alu instid0(VALU_DEP_1) | instskip(SKIP_1) | instid1(VALU_DEP_1)
	v_fma_f64 v[86:87], v[124:125], v[14:15], -v[0:1]
	v_mul_f64_e32 v[0:1], v[126:127], v[14:15]
	v_fma_f64 v[88:89], v[124:125], v[12:13], v[0:1]
	ds_load_b128 v[0:3], v170
	ds_load_b128 v[4:7], v170 offset:1728
	s_wait_dscnt 0x1
	v_fma_f64 v[90:91], v[8:9], -0.5, v[0:1]
	v_add_f64_e32 v[8:9], v[62:63], v[74:75]
	v_add_f64_e32 v[0:1], v[0:1], v[60:61]
	v_add_f64_e64 v[60:61], v[60:61], -v[72:73]
	s_delay_alu instid0(VALU_DEP_3) | instskip(NEXT) | instid1(VALU_DEP_3)
	v_fma_f64 v[92:93], v[8:9], -0.5, v[2:3]
	v_add_f64_e32 v[8:9], v[0:1], v[72:73]
	v_add_f64_e32 v[0:1], v[52:53], v[50:51]
	;; [unrolled: 1-line block ×3, first 2 shown]
	v_add_f64_e64 v[62:63], v[62:63], -v[74:75]
	s_delay_alu instid0(VALU_DEP_3) | instskip(SKIP_1) | instid1(VALU_DEP_4)
	v_add_f64_e32 v[12:13], v[0:1], v[58:59]
	v_add_f64_e32 v[0:1], v[76:77], v[48:49]
	;; [unrolled: 1-line block ×3, first 2 shown]
	s_delay_alu instid0(VALU_DEP_2) | instskip(NEXT) | instid1(VALU_DEP_4)
	v_add_f64_e32 v[14:15], v[0:1], v[56:57]
	v_add_f64_e32 v[0:1], v[8:9], v[12:13]
	v_add_f64_e64 v[8:9], v[8:9], -v[12:13]
	v_add_f64_e32 v[12:13], v[78:79], v[82:83]
	s_delay_alu instid0(VALU_DEP_4) | instskip(SKIP_2) | instid1(VALU_DEP_3)
	v_add_f64_e32 v[2:3], v[10:11], v[14:15]
	v_add_f64_e64 v[10:11], v[10:11], -v[14:15]
	s_wait_dscnt 0x0
	v_fma_f64 v[94:95], v[12:13], -0.5, v[4:5]
	v_add_f64_e32 v[12:13], v[80:81], v[84:85]
	v_add_f64_e32 v[4:5], v[4:5], v[78:79]
	v_add_f64_e64 v[78:79], v[78:79], -v[82:83]
	s_delay_alu instid0(VALU_DEP_3) | instskip(NEXT) | instid1(VALU_DEP_3)
	v_fma_f64 v[96:97], v[12:13], -0.5, v[6:7]
	v_add_f64_e32 v[12:13], v[4:5], v[82:83]
	v_add_f64_e32 v[4:5], v[88:89], v[66:67]
	v_add_f64_e32 v[6:7], v[6:7], v[80:81]
	v_add_f64_e64 v[80:81], v[80:81], -v[84:85]
	s_delay_alu instid0(VALU_DEP_3) | instskip(SKIP_1) | instid1(VALU_DEP_4)
	v_add_f64_e32 v[54:55], v[4:5], v[70:71]
	v_add_f64_e32 v[4:5], v[86:87], v[64:65]
	;; [unrolled: 1-line block ×3, first 2 shown]
	v_fma_f64 v[84:85], v[78:79], s[2:3], v[96:97]
	v_fma_f64 v[78:79], v[78:79], s[12:13], v[96:97]
	s_delay_alu instid0(VALU_DEP_4)
	v_add_f64_e32 v[98:99], v[4:5], v[68:69]
	v_add_f64_e32 v[4:5], v[12:13], v[54:55]
	v_add_f64_e64 v[12:13], v[12:13], -v[54:55]
	v_add_f64_e32 v[54:55], v[50:51], v[58:59]
	v_add_f64_e64 v[58:59], v[50:51], -v[58:59]
	v_add_f64_e32 v[50:51], v[48:49], v[56:57]
	v_add_f64_e64 v[56:57], v[48:49], -v[56:57]
	v_add_f64_e32 v[6:7], v[14:15], v[98:99]
	v_add_f64_e64 v[14:15], v[14:15], -v[98:99]
	v_fma_f64 v[98:99], v[60:61], s[2:3], v[92:93]
	v_fma_f64 v[72:73], v[54:55], -0.5, v[52:53]
	v_fma_f64 v[76:77], v[50:51], -0.5, v[76:77]
	s_delay_alu instid0(VALU_DEP_2) | instskip(SKIP_1) | instid1(VALU_DEP_3)
	v_fma_f64 v[52:53], v[56:57], s[12:13], v[72:73]
	v_fma_f64 v[56:57], v[56:57], s[2:3], v[72:73]
	;; [unrolled: 1-line block ×5, first 2 shown]
	s_delay_alu instid0(VALU_DEP_3) | instskip(SKIP_1) | instid1(VALU_DEP_4)
	v_mul_f64_e32 v[50:51], s[12:13], v[48:49]
	v_mul_f64_e32 v[48:49], 0.5, v[48:49]
	v_mul_f64_e32 v[60:61], s[12:13], v[58:59]
	v_mul_f64_e32 v[58:59], -0.5, v[58:59]
	s_delay_alu instid0(VALU_DEP_4) | instskip(NEXT) | instid1(VALU_DEP_4)
	v_fma_f64 v[54:55], v[52:53], 0.5, v[50:51]
	v_fma_f64 v[74:75], v[52:53], s[2:3], v[48:49]
	v_fma_f64 v[52:53], v[62:63], s[12:13], v[90:91]
	;; [unrolled: 1-line block ×3, first 2 shown]
	v_fma_f64 v[60:61], v[56:57], -0.5, v[60:61]
	s_delay_alu instid0(VALU_DEP_4) | instskip(NEXT) | instid1(VALU_DEP_4)
	v_add_f64_e32 v[50:51], v[98:99], v[74:75]
	v_add_f64_e32 v[48:49], v[52:53], v[54:55]
	v_add_f64_e64 v[52:53], v[52:53], -v[54:55]
	v_add_f64_e64 v[54:55], v[98:99], -v[74:75]
	v_fma_f64 v[74:75], v[56:57], s[2:3], v[58:59]
	v_add_f64_e32 v[56:57], v[62:63], v[60:61]
	v_add_f64_e64 v[60:61], v[62:63], -v[60:61]
	s_delay_alu instid0(VALU_DEP_3) | instskip(SKIP_4) | instid1(VALU_DEP_3)
	v_add_f64_e32 v[58:59], v[72:73], v[74:75]
	v_add_f64_e64 v[62:63], v[72:73], -v[74:75]
	v_add_f64_e32 v[72:73], v[66:67], v[70:71]
	v_add_f64_e64 v[74:75], v[66:67], -v[70:71]
	v_add_f64_e32 v[66:67], v[64:65], v[68:69]
	v_fma_f64 v[72:73], v[72:73], -0.5, v[88:89]
	s_delay_alu instid0(VALU_DEP_2) | instskip(SKIP_1) | instid1(VALU_DEP_2)
	v_fma_f64 v[76:77], v[66:67], -0.5, v[86:87]
	v_add_f64_e64 v[86:87], v[64:65], -v[68:69]
	v_fma_f64 v[64:65], v[74:75], s[2:3], v[76:77]
	s_delay_alu instid0(VALU_DEP_2)
	v_fma_f64 v[68:69], v[86:87], s[12:13], v[72:73]
	v_fma_f64 v[74:75], v[74:75], s[12:13], v[76:77]
	;; [unrolled: 1-line block ×4, first 2 shown]
	v_mul_f64_e32 v[66:67], s[12:13], v[64:65]
	v_mul_f64_e32 v[64:65], 0.5, v[64:65]
	s_delay_alu instid0(VALU_DEP_2) | instskip(NEXT) | instid1(VALU_DEP_2)
	v_fma_f64 v[70:71], v[68:69], 0.5, v[66:67]
	v_fma_f64 v[82:83], v[68:69], s[2:3], v[64:65]
	v_fma_f64 v[68:69], v[80:81], s[12:13], v[94:95]
	v_mul_f64_e32 v[80:81], s[12:13], v[74:75]
	v_mul_f64_e32 v[74:75], -0.5, v[74:75]
	s_delay_alu instid0(VALU_DEP_4) | instskip(NEXT) | instid1(VALU_DEP_4)
	v_add_f64_e32 v[66:67], v[84:85], v[82:83]
	v_add_f64_e32 v[64:65], v[68:69], v[70:71]
	v_add_f64_e64 v[68:69], v[68:69], -v[70:71]
	v_add_f64_e64 v[70:71], v[84:85], -v[82:83]
	v_fma_f64 v[80:81], v[72:73], -0.5, v[80:81]
	v_fma_f64 v[82:83], v[72:73], s[2:3], v[74:75]
	s_mul_u64 s[2:3], s[4:5], 0xd80
	s_delay_alu instid0(VALU_DEP_2) | instskip(NEXT) | instid1(VALU_DEP_2)
	v_add_f64_e32 v[72:73], v[76:77], v[80:81]
	v_add_f64_e32 v[74:75], v[78:79], v[82:83]
	v_add_f64_e64 v[76:77], v[76:77], -v[80:81]
	v_add_f64_e64 v[78:79], v[78:79], -v[82:83]
	ds_store_b128 v170, v[0:3]
	ds_store_b128 v170, v[4:7] offset:1728
	ds_store_b128 v170, v[8:11] offset:10368
	;; [unrolled: 1-line block ×11, first 2 shown]
	global_wb scope:SCOPE_SE
	s_wait_dscnt 0x0
	s_barrier_signal -1
	s_barrier_wait -1
	global_inv scope:SCOPE_SE
	ds_load_b128 v[0:3], v170
	ds_load_b128 v[4:7], v170 offset:1728
	scratch_load_b128 v[10:13], off, off offset:24 th:TH_LOAD_LU ; 16-byte Folded Reload
	s_wait_loadcnt_dscnt 0x1
	v_mul_f64_e32 v[8:9], v[12:13], v[2:3]
	s_delay_alu instid0(VALU_DEP_1) | instskip(SKIP_1) | instid1(VALU_DEP_1)
	v_fma_f64 v[48:49], v[10:11], v[0:1], v[8:9]
	v_mul_f64_e32 v[0:1], v[12:13], v[0:1]
	v_fma_f64 v[50:51], v[10:11], v[2:3], -v[0:1]
	ds_load_b128 v[0:3], v170 offset:3456
	ds_load_b128 v[8:11], v170 offset:5184
	scratch_load_b128 v[54:57], off, off offset:8 th:TH_LOAD_LU ; 16-byte Folded Reload
	s_wait_loadcnt_dscnt 0x1
	v_mul_f64_e32 v[12:13], v[56:57], v[2:3]
	s_delay_alu instid0(VALU_DEP_1) | instskip(SKIP_1) | instid1(VALU_DEP_1)
	v_fma_f64 v[52:53], v[54:55], v[0:1], v[12:13]
	v_mul_f64_e32 v[0:1], v[56:57], v[0:1]
	v_fma_f64 v[54:55], v[54:55], v[2:3], -v[0:1]
	ds_load_b128 v[0:3], v170 offset:6912
	ds_load_b128 v[12:15], v170 offset:8640
	s_wait_dscnt 0x1
	v_mul_f64_e32 v[56:57], v[30:31], v[2:3]
	s_delay_alu instid0(VALU_DEP_1) | instskip(SKIP_1) | instid1(VALU_DEP_1)
	v_fma_f64 v[56:57], v[28:29], v[0:1], v[56:57]
	v_mul_f64_e32 v[0:1], v[30:31], v[0:1]
	v_fma_f64 v[58:59], v[28:29], v[2:3], -v[0:1]
	ds_load_b128 v[0:3], v170 offset:10368
	ds_load_b128 v[28:31], v170 offset:12096
	s_wait_dscnt 0x1
	;; [unrolled: 8-line block ×3, first 2 shown]
	v_mul_f64_e32 v[64:65], v[42:43], v[2:3]
	s_delay_alu instid0(VALU_DEP_1) | instskip(SKIP_1) | instid1(VALU_DEP_1)
	v_fma_f64 v[64:65], v[40:41], v[0:1], v[64:65]
	v_mul_f64_e32 v[0:1], v[42:43], v[0:1]
	v_fma_f64 v[66:67], v[40:41], v[2:3], -v[0:1]
	ds_load_b128 v[0:3], v170 offset:17280
	ds_load_b128 v[40:43], v170 offset:19008
	scratch_load_b128 v[70:73], off, off offset:40 th:TH_LOAD_LU ; 16-byte Folded Reload
	s_wait_dscnt 0x1
	v_mul_f64_e32 v[68:69], v[46:47], v[2:3]
	s_delay_alu instid0(VALU_DEP_1) | instskip(SKIP_1) | instid1(VALU_DEP_1)
	v_fma_f64 v[68:69], v[44:45], v[0:1], v[68:69]
	v_mul_f64_e32 v[0:1], v[46:47], v[0:1]
	v_fma_f64 v[44:45], v[44:45], v[2:3], -v[0:1]
	s_wait_loadcnt 0x0
	v_mul_f64_e32 v[0:1], v[72:73], v[6:7]
	s_delay_alu instid0(VALU_DEP_1)
	v_fma_f64 v[46:47], v[70:71], v[4:5], v[0:1]
	v_mul_f64_e32 v[0:1], v[72:73], v[4:5]
	scratch_load_b128 v[2:5], off, off offset:56 th:TH_LOAD_LU ; 16-byte Folded Reload
	v_fma_f64 v[70:71], v[70:71], v[6:7], -v[0:1]
	s_wait_loadcnt 0x0
	v_mul_f64_e32 v[0:1], v[4:5], v[10:11]
	s_delay_alu instid0(VALU_DEP_1) | instskip(SKIP_1) | instid1(VALU_DEP_1)
	v_fma_f64 v[72:73], v[2:3], v[8:9], v[0:1]
	v_mul_f64_e32 v[0:1], v[4:5], v[8:9]
	v_fma_f64 v[74:75], v[2:3], v[10:11], -v[0:1]
	scratch_load_b64 v[2:3], off, off th:TH_LOAD_LU ; 8-byte Folded Reload
	v_mul_f64_e32 v[0:1], v[18:19], v[14:15]
	s_delay_alu instid0(VALU_DEP_1) | instskip(SKIP_1) | instid1(VALU_DEP_1)
	v_fma_f64 v[76:77], v[16:17], v[12:13], v[0:1]
	v_mul_f64_e32 v[0:1], v[18:19], v[12:13]
	v_fma_f64 v[78:79], v[16:17], v[14:15], -v[0:1]
	v_mul_f64_e32 v[0:1], v[22:23], v[30:31]
	s_delay_alu instid0(VALU_DEP_1) | instskip(SKIP_1) | instid1(VALU_DEP_1)
	v_fma_f64 v[80:81], v[20:21], v[28:29], v[0:1]
	v_mul_f64_e32 v[0:1], v[22:23], v[28:29]
	v_fma_f64 v[28:29], v[20:21], v[30:31], -v[0:1]
	;; [unrolled: 5-line block ×3, first 2 shown]
	s_wait_dscnt 0x0
	v_mul_f64_e32 v[0:1], v[34:35], v[42:43]
	s_delay_alu instid0(VALU_DEP_1) | instskip(SKIP_1) | instid1(VALU_DEP_1)
	v_fma_f64 v[38:39], v[32:33], v[40:41], v[0:1]
	v_mul_f64_e32 v[0:1], v[34:35], v[40:41]
	v_fma_f64 v[34:35], v[32:33], v[42:43], -v[0:1]
	s_wait_loadcnt 0x0
	v_mad_co_u64_u32 v[0:1], null, s6, v2, 0
	s_delay_alu instid0(VALU_DEP_1) | instskip(SKIP_1) | instid1(VALU_DEP_2)
	v_mad_co_u64_u32 v[1:2], null, s7, v2, v[1:2]
	v_mad_co_u64_u32 v[2:3], null, s4, v169, 0
	v_lshlrev_b64_e32 v[0:1], 4, v[0:1]
	s_delay_alu instid0(VALU_DEP_2) | instskip(NEXT) | instid1(VALU_DEP_2)
	v_mad_co_u64_u32 v[3:4], null, s5, v169, v[3:4]
	v_add_co_u32 v4, vcc_lo, s0, v0
	s_wait_alu 0xfffd
	s_delay_alu instid0(VALU_DEP_3) | instskip(NEXT) | instid1(VALU_DEP_3)
	v_add_co_ci_u32_e32 v5, vcc_lo, s1, v1, vcc_lo
	v_lshlrev_b64_e32 v[0:1], 4, v[2:3]
	s_mov_b32 s0, 0xfcd6e9e0
	s_mov_b32 s1, 0x3f4948b0
	s_wait_alu 0xfffe
	v_mul_f64_e32 v[2:3], s[0:1], v[50:51]
	v_mul_f64_e32 v[6:7], s[0:1], v[62:63]
	v_add_co_u32 v4, vcc_lo, v4, v0
	s_wait_alu 0xfffd
	v_add_co_ci_u32_e32 v5, vcc_lo, v5, v1, vcc_lo
	v_mul_f64_e32 v[0:1], s[0:1], v[48:49]
	v_mul_f64_e32 v[10:11], s[0:1], v[44:45]
	;; [unrolled: 1-line block ×14, first 2 shown]
	global_store_b128 v[4:5], v[0:3], off
	v_mul_f64_e32 v[0:1], s[0:1], v[52:53]
	v_mul_f64_e32 v[2:3], s[0:1], v[54:55]
	v_add_co_u32 v4, vcc_lo, v4, s2
	s_wait_alu 0xfffd
	v_add_co_ci_u32_e32 v5, vcc_lo, s3, v5, vcc_lo
	s_delay_alu instid0(VALU_DEP_2) | instskip(SKIP_1) | instid1(VALU_DEP_2)
	v_add_co_u32 v8, vcc_lo, v4, s2
	s_wait_alu 0xfffd
	v_add_co_ci_u32_e32 v9, vcc_lo, s3, v5, vcc_lo
	s_delay_alu instid0(VALU_DEP_2) | instskip(SKIP_1) | instid1(VALU_DEP_2)
	;; [unrolled: 4-line block ×4, first 2 shown]
	v_add_co_u32 v48, vcc_lo, v42, s2
	s_wait_alu 0xfffd
	v_add_co_ci_u32_e32 v49, vcc_lo, s3, v43, vcc_lo
	s_delay_alu instid0(VALU_DEP_1)
	v_mad_co_u64_u32 v[36:37], null, 0xffffc340, s4, v[48:49]
	global_store_b128 v[4:5], v[0:3], off
	v_mul_f64_e32 v[0:1], s[0:1], v[56:57]
	v_mul_f64_e32 v[2:3], s[0:1], v[58:59]
	;; [unrolled: 1-line block ×3, first 2 shown]
	global_store_b128 v[8:9], v[0:3], off
	v_mul_f64_e32 v[0:1], s[0:1], v[64:65]
	v_mul_f64_e32 v[2:3], s[0:1], v[66:67]
	;; [unrolled: 1-line block ×3, first 2 shown]
	s_mul_i32 s0, s5, 0xffffc340
	global_store_b128 v[40:41], v[4:7], off
	s_wait_alu 0xfffe
	s_sub_co_i32 s0, s0, s4
	v_add_co_u32 v4, vcc_lo, v36, s2
	s_wait_alu 0xfffe
	v_add_nc_u32_e32 v37, s0, v37
	s_wait_alu 0xfffd
	s_delay_alu instid0(VALU_DEP_1) | instskip(SKIP_2) | instid1(VALU_DEP_2)
	v_add_co_ci_u32_e32 v5, vcc_lo, s3, v37, vcc_lo
	v_add_co_u32 v6, vcc_lo, v4, s2
	s_wait_alu 0xfffd
	v_add_co_ci_u32_e32 v7, vcc_lo, s3, v5, vcc_lo
	s_delay_alu instid0(VALU_DEP_2) | instskip(SKIP_1) | instid1(VALU_DEP_2)
	v_add_co_u32 v38, vcc_lo, v6, s2
	s_wait_alu 0xfffd
	v_add_co_ci_u32_e32 v39, vcc_lo, s3, v7, vcc_lo
	global_store_b128 v[42:43], v[0:3], off
	v_add_co_u32 v0, vcc_lo, v38, s2
	s_wait_alu 0xfffd
	v_add_co_ci_u32_e32 v1, vcc_lo, s3, v39, vcc_lo
	s_delay_alu instid0(VALU_DEP_2) | instskip(SKIP_1) | instid1(VALU_DEP_2)
	v_add_co_u32 v2, vcc_lo, v0, s2
	s_wait_alu 0xfffd
	v_add_co_ci_u32_e32 v3, vcc_lo, s3, v1, vcc_lo
	global_store_b128 v[48:49], v[8:11], off
	global_store_b128 v[36:37], v[12:15], off
	;; [unrolled: 1-line block ×7, first 2 shown]
.LBB0_2:
	s_nop 0
	s_sendmsg sendmsg(MSG_DEALLOC_VGPRS)
	s_endpgm
	.section	.rodata,"a",@progbits
	.p2align	6, 0x0
	.amdhsa_kernel bluestein_single_back_len1296_dim1_dp_op_CI_CI
		.amdhsa_group_segment_fixed_size 20736
		.amdhsa_private_segment_fixed_size 76
		.amdhsa_kernarg_size 104
		.amdhsa_user_sgpr_count 2
		.amdhsa_user_sgpr_dispatch_ptr 0
		.amdhsa_user_sgpr_queue_ptr 0
		.amdhsa_user_sgpr_kernarg_segment_ptr 1
		.amdhsa_user_sgpr_dispatch_id 0
		.amdhsa_user_sgpr_private_segment_size 0
		.amdhsa_wavefront_size32 1
		.amdhsa_uses_dynamic_stack 0
		.amdhsa_enable_private_segment 1
		.amdhsa_system_sgpr_workgroup_id_x 1
		.amdhsa_system_sgpr_workgroup_id_y 0
		.amdhsa_system_sgpr_workgroup_id_z 0
		.amdhsa_system_sgpr_workgroup_info 0
		.amdhsa_system_vgpr_workitem_id 0
		.amdhsa_next_free_vgpr 256
		.amdhsa_next_free_sgpr 20
		.amdhsa_reserve_vcc 1
		.amdhsa_float_round_mode_32 0
		.amdhsa_float_round_mode_16_64 0
		.amdhsa_float_denorm_mode_32 3
		.amdhsa_float_denorm_mode_16_64 3
		.amdhsa_fp16_overflow 0
		.amdhsa_workgroup_processor_mode 1
		.amdhsa_memory_ordered 1
		.amdhsa_forward_progress 0
		.amdhsa_round_robin_scheduling 0
		.amdhsa_exception_fp_ieee_invalid_op 0
		.amdhsa_exception_fp_denorm_src 0
		.amdhsa_exception_fp_ieee_div_zero 0
		.amdhsa_exception_fp_ieee_overflow 0
		.amdhsa_exception_fp_ieee_underflow 0
		.amdhsa_exception_fp_ieee_inexact 0
		.amdhsa_exception_int_div_zero 0
	.end_amdhsa_kernel
	.text
.Lfunc_end0:
	.size	bluestein_single_back_len1296_dim1_dp_op_CI_CI, .Lfunc_end0-bluestein_single_back_len1296_dim1_dp_op_CI_CI
                                        ; -- End function
	.section	.AMDGPU.csdata,"",@progbits
; Kernel info:
; codeLenInByte = 13228
; NumSgprs: 22
; NumVgprs: 256
; ScratchSize: 76
; MemoryBound: 0
; FloatMode: 240
; IeeeMode: 1
; LDSByteSize: 20736 bytes/workgroup (compile time only)
; SGPRBlocks: 2
; VGPRBlocks: 31
; NumSGPRsForWavesPerEU: 22
; NumVGPRsForWavesPerEU: 256
; Occupancy: 5
; WaveLimiterHint : 1
; COMPUTE_PGM_RSRC2:SCRATCH_EN: 1
; COMPUTE_PGM_RSRC2:USER_SGPR: 2
; COMPUTE_PGM_RSRC2:TRAP_HANDLER: 0
; COMPUTE_PGM_RSRC2:TGID_X_EN: 1
; COMPUTE_PGM_RSRC2:TGID_Y_EN: 0
; COMPUTE_PGM_RSRC2:TGID_Z_EN: 0
; COMPUTE_PGM_RSRC2:TIDIG_COMP_CNT: 0
	.text
	.p2alignl 7, 3214868480
	.fill 96, 4, 3214868480
	.type	__hip_cuid_89b36511cfeedf30,@object ; @__hip_cuid_89b36511cfeedf30
	.section	.bss,"aw",@nobits
	.globl	__hip_cuid_89b36511cfeedf30
__hip_cuid_89b36511cfeedf30:
	.byte	0                               ; 0x0
	.size	__hip_cuid_89b36511cfeedf30, 1

	.ident	"AMD clang version 19.0.0git (https://github.com/RadeonOpenCompute/llvm-project roc-6.4.0 25133 c7fe45cf4b819c5991fe208aaa96edf142730f1d)"
	.section	".note.GNU-stack","",@progbits
	.addrsig
	.addrsig_sym __hip_cuid_89b36511cfeedf30
	.amdgpu_metadata
---
amdhsa.kernels:
  - .args:
      - .actual_access:  read_only
        .address_space:  global
        .offset:         0
        .size:           8
        .value_kind:     global_buffer
      - .actual_access:  read_only
        .address_space:  global
        .offset:         8
        .size:           8
        .value_kind:     global_buffer
      - .actual_access:  read_only
        .address_space:  global
        .offset:         16
        .size:           8
        .value_kind:     global_buffer
      - .actual_access:  read_only
        .address_space:  global
        .offset:         24
        .size:           8
        .value_kind:     global_buffer
      - .actual_access:  read_only
        .address_space:  global
        .offset:         32
        .size:           8
        .value_kind:     global_buffer
      - .offset:         40
        .size:           8
        .value_kind:     by_value
      - .address_space:  global
        .offset:         48
        .size:           8
        .value_kind:     global_buffer
      - .address_space:  global
        .offset:         56
        .size:           8
        .value_kind:     global_buffer
      - .address_space:  global
        .offset:         64
        .size:           8
        .value_kind:     global_buffer
      - .address_space:  global
        .offset:         72
        .size:           8
        .value_kind:     global_buffer
      - .offset:         80
        .size:           4
        .value_kind:     by_value
      - .address_space:  global
        .offset:         88
        .size:           8
        .value_kind:     global_buffer
      - .address_space:  global
        .offset:         96
        .size:           8
        .value_kind:     global_buffer
    .group_segment_fixed_size: 20736
    .kernarg_segment_align: 8
    .kernarg_segment_size: 104
    .language:       OpenCL C
    .language_version:
      - 2
      - 0
    .max_flat_workgroup_size: 108
    .name:           bluestein_single_back_len1296_dim1_dp_op_CI_CI
    .private_segment_fixed_size: 76
    .sgpr_count:     22
    .sgpr_spill_count: 0
    .symbol:         bluestein_single_back_len1296_dim1_dp_op_CI_CI.kd
    .uniform_work_group_size: 1
    .uses_dynamic_stack: false
    .vgpr_count:     256
    .vgpr_spill_count: 18
    .wavefront_size: 32
    .workgroup_processor_mode: 1
amdhsa.target:   amdgcn-amd-amdhsa--gfx1201
amdhsa.version:
  - 1
  - 2
...

	.end_amdgpu_metadata
